;; amdgpu-corpus repo=ROCm/rocFFT kind=compiled arch=gfx906 opt=O3
	.text
	.amdgcn_target "amdgcn-amd-amdhsa--gfx906"
	.amdhsa_code_object_version 6
	.protected	bluestein_single_back_len1936_dim1_sp_op_CI_CI ; -- Begin function bluestein_single_back_len1936_dim1_sp_op_CI_CI
	.globl	bluestein_single_back_len1936_dim1_sp_op_CI_CI
	.p2align	8
	.type	bluestein_single_back_len1936_dim1_sp_op_CI_CI,@function
bluestein_single_back_len1936_dim1_sp_op_CI_CI: ; @bluestein_single_back_len1936_dim1_sp_op_CI_CI
; %bb.0:
	s_load_dwordx4 s[12:15], s[4:5], 0x28
	v_mul_u32_u24_e32 v1, 0x175, v0
	v_add_u32_sdwa v74, s6, v1 dst_sel:DWORD dst_unused:UNUSED_PAD src0_sel:DWORD src1_sel:WORD_1
	v_mov_b32_e32 v75, 0
	s_waitcnt lgkmcnt(0)
	v_cmp_gt_u64_e32 vcc, s[12:13], v[74:75]
	s_and_saveexec_b64 s[0:1], vcc
	s_cbranch_execz .LBB0_31
; %bb.1:
	s_load_dwordx4 s[0:3], s[4:5], 0x18
	s_load_dwordx2 s[16:17], s[4:5], 0x0
	s_waitcnt lgkmcnt(0)
	s_load_dwordx4 s[8:11], s[0:1], 0x0
	s_movk_i32 s0, 0xb0
	v_mul_lo_u16_sdwa v1, v1, s0 dst_sel:DWORD dst_unused:UNUSED_PAD src0_sel:WORD_1 src1_sel:DWORD
	v_sub_u16_e32 v96, v0, v1
	v_lshlrev_b32_e32 v93, 3, v96
	s_waitcnt lgkmcnt(0)
	v_mad_u64_u32 v[0:1], s[0:1], s10, v74, 0
	v_mad_u64_u32 v[2:3], s[0:1], s8, v96, 0
	v_add_co_u32_e64 v94, s[6:7], s16, v93
	v_mad_u64_u32 v[4:5], s[0:1], s11, v74, v[1:2]
	global_load_dwordx2 v[81:82], v93, s[16:17]
	v_mad_u64_u32 v[5:6], s[0:1], s9, v96, v[3:4]
	v_mov_b32_e32 v1, v4
	v_lshlrev_b64 v[0:1], 3, v[0:1]
	v_mov_b32_e32 v6, s15
	v_mov_b32_e32 v3, v5
	v_add_co_u32_e32 v4, vcc, s14, v0
	v_addc_co_u32_e32 v5, vcc, v6, v1, vcc
	v_lshlrev_b64 v[0:1], 3, v[2:3]
	s_mul_i32 s0, s9, 0x3c8
	s_mul_hi_u32 s1, s8, 0x3c8
	v_add_co_u32_e32 v0, vcc, v4, v0
	v_mov_b32_e32 v2, s17
	s_add_i32 s1, s1, s0
	s_mul_i32 s0, s8, 0x3c8
	v_addc_co_u32_e32 v1, vcc, v5, v1, vcc
	v_addc_co_u32_e64 v95, vcc, 0, v2, s[6:7]
	s_lshl_b64 s[14:15], s[0:1], 3
	v_mov_b32_e32 v22, s15
	v_add_co_u32_e32 v2, vcc, s14, v0
	v_addc_co_u32_e32 v3, vcc, v1, v22, vcc
	s_movk_i32 s0, 0x1000
	s_mul_hi_u32 s1, s8, 0xfffffce8
	global_load_dwordx2 v[4:5], v[0:1], off
	global_load_dwordx2 v[6:7], v[2:3], off
	v_add_co_u32_e32 v0, vcc, s0, v94
	s_mul_i32 s0, s9, 0xfffffce8
	s_sub_i32 s1, s1, s8
	s_add_i32 s1, s1, s0
	s_mul_i32 s0, s8, 0xfffffce8
	v_addc_co_u32_e32 v1, vcc, 0, v95, vcc
	s_lshl_b64 s[18:19], s[0:1], 3
	v_mov_b32_e32 v23, s19
	v_add_co_u32_e32 v2, vcc, s18, v2
	v_addc_co_u32_e32 v3, vcc, v3, v23, vcc
	v_add_co_u32_e32 v8, vcc, s14, v2
	v_addc_co_u32_e32 v9, vcc, v3, v22, vcc
	s_movk_i32 s0, 0x2000
	global_load_dwordx2 v[77:78], v[0:1], off offset:3648
	global_load_dwordx2 v[10:11], v[2:3], off
	global_load_dwordx2 v[12:13], v[8:9], off
	v_add_co_u32_e32 v2, vcc, s0, v94
	v_addc_co_u32_e32 v3, vcc, 0, v95, vcc
	v_add_co_u32_e32 v8, vcc, s18, v8
	v_addc_co_u32_e32 v9, vcc, v9, v23, vcc
	global_load_dwordx2 v[14:15], v[8:9], off
	global_load_dwordx2 v[83:84], v93, s[16:17] offset:1408
	global_load_dwordx2 v[75:76], v93, s[16:17] offset:2816
	v_add_co_u32_e32 v8, vcc, s14, v8
	v_addc_co_u32_e32 v9, vcc, v9, v22, vcc
	global_load_dwordx2 v[16:17], v[8:9], off
	global_load_dwordx2 v[79:80], v[2:3], off offset:960
	global_load_dwordx2 v[72:73], v[2:3], off offset:2368
	v_add_co_u32_e32 v8, vcc, s18, v8
	v_addc_co_u32_e32 v9, vcc, v9, v23, vcc
	global_load_dwordx2 v[18:19], v[8:9], off
	global_load_dwordx2 v[70:71], v[0:1], off offset:128
	v_add_co_u32_e32 v8, vcc, s14, v8
	v_addc_co_u32_e32 v9, vcc, v9, v22, vcc
	global_load_dwordx2 v[20:21], v[8:9], off
	;; [unrolled: 4-line block ×3, first 2 shown]
	global_load_dwordx2 v[64:65], v[0:1], off offset:1536
	v_add_co_u32_e32 v0, vcc, s14, v2
	v_addc_co_u32_e32 v1, vcc, v3, v22, vcc
	s_movk_i32 s0, 0x3000
	v_add_co_u32_e32 v2, vcc, s0, v94
	v_addc_co_u32_e32 v3, vcc, 0, v95, vcc
	global_load_dwordx2 v[22:23], v[0:1], off
	global_load_dwordx2 v[66:67], v[2:3], off offset:1088
	s_load_dwordx2 s[12:13], s[4:5], 0x38
	s_load_dwordx4 s[8:11], s[2:3], 0x0
	s_movk_i32 s0, 0x58
	v_cmp_gt_u16_e64 s[0:1], s0, v96
	s_waitcnt vmcnt(18)
	v_mul_f32_e32 v2, v5, v82
	v_mul_f32_e32 v3, v4, v82
	v_fmac_f32_e32 v2, v4, v81
	v_fma_f32 v3, v5, v81, -v3
	s_waitcnt vmcnt(16)
	v_mul_f32_e32 v4, v7, v78
	v_mul_f32_e32 v5, v6, v78
	v_fmac_f32_e32 v4, v6, v77
	v_fma_f32 v5, v7, v77, -v5
	ds_write_b64 v93, v[4:5] offset:7744
	s_waitcnt vmcnt(12)
	v_mul_f32_e32 v4, v11, v84
	v_mul_f32_e32 v5, v10, v84
	v_fmac_f32_e32 v4, v10, v83
	v_fma_f32 v5, v11, v83, -v5
	ds_write2_b64 v93, v[2:3], v[4:5] offset1:176
	s_waitcnt vmcnt(9)
	v_mul_f32_e32 v2, v13, v80
	v_mul_f32_e32 v3, v12, v80
	s_waitcnt vmcnt(8)
	v_mul_f32_e32 v6, v17, v73
	v_mul_f32_e32 v7, v16, v73
	v_fmac_f32_e32 v2, v12, v79
	v_fma_f32 v3, v13, v79, -v3
	v_fmac_f32_e32 v6, v16, v72
	v_fma_f32 v7, v17, v72, -v7
	v_add_u32_e32 v10, 0x2200, v93
	v_mul_f32_e32 v4, v15, v76
	v_mul_f32_e32 v5, v14, v76
	ds_write2_b64 v10, v[2:3], v[6:7] offset0:56 offset1:232
	s_waitcnt vmcnt(6)
	v_mul_f32_e32 v6, v19, v71
	v_mul_f32_e32 v2, v18, v71
	v_fmac_f32_e32 v4, v14, v75
	v_fma_f32 v5, v15, v75, -v5
	v_fmac_f32_e32 v6, v18, v70
	v_fma_f32 v7, v19, v70, -v2
	v_add_u32_e32 v2, 0xa00, v93
	ds_write2_b64 v2, v[4:5], v[6:7] offset0:32 offset1:208
	s_waitcnt vmcnt(2)
	v_mul_f32_e32 v5, v9, v65
	v_mul_f32_e32 v6, v8, v65
	v_fmac_f32_e32 v5, v8, v64
	v_fma_f32 v6, v9, v64, -v6
	v_mul_f32_e32 v3, v21, v69
	v_mul_f32_e32 v4, v20, v69
	ds_write_b64 v93, v[5:6] offset:5632
	s_waitcnt vmcnt(0)
	v_mul_f32_e32 v5, v23, v67
	v_mul_f32_e32 v6, v22, v67
	v_fmac_f32_e32 v3, v20, v68
	v_fma_f32 v4, v21, v68, -v4
	v_fmac_f32_e32 v5, v22, v66
	v_fma_f32 v6, v23, v66, -v6
	v_add_u32_e32 v7, 0x2e00, v93
	ds_write2_b64 v7, v[3:4], v[5:6] offset0:24 offset1:200
	s_and_saveexec_b64 s[2:3], s[0:1]
	s_cbranch_execz .LBB0_3
; %bb.2:
	v_mov_b32_e32 v3, s19
	v_add_co_u32_e32 v0, vcc, s18, v0
	v_addc_co_u32_e32 v1, vcc, v1, v3, vcc
	v_add_co_u32_e32 v5, vcc, 0x1000, v94
	v_addc_co_u32_e32 v6, vcc, 0, v95, vcc
	global_load_dwordx2 v[3:4], v[0:1], off
	v_mov_b32_e32 v7, s15
	v_add_co_u32_e32 v0, vcc, s14, v0
	v_addc_co_u32_e32 v1, vcc, v1, v7, vcc
	v_add_co_u32_e32 v7, vcc, 0x3000, v94
	global_load_dwordx2 v[5:6], v[5:6], off offset:2944
	v_addc_co_u32_e32 v8, vcc, 0, v95, vcc
	global_load_dwordx2 v[7:8], v[7:8], off offset:2496
	s_waitcnt vmcnt(1)
	v_mul_f32_e32 v9, v4, v6
	global_load_dwordx2 v[0:1], v[0:1], off
	v_mul_f32_e32 v6, v3, v6
	v_fmac_f32_e32 v9, v3, v5
	v_fma_f32 v10, v4, v5, -v6
	ds_write_b64 v93, v[9:10] offset:7040
	s_waitcnt vmcnt(0)
	v_mul_f32_e32 v3, v1, v8
	v_mul_f32_e32 v4, v0, v8
	v_fmac_f32_e32 v3, v0, v7
	v_fma_f32 v4, v1, v7, -v4
	ds_write_b64 v93, v[3:4] offset:14784
.LBB0_3:
	s_or_b64 exec, exec, s[2:3]
	v_add_u32_e32 v0, 0x1c00, v93
	v_add_u32_e32 v8, 0x2800, v93
	s_waitcnt lgkmcnt(0)
	s_barrier
	ds_read2_b64 v[4:7], v93 offset1:176
	ds_read2_b64 v[12:15], v0 offset0:72 offset1:248
	ds_read2_b64 v[0:3], v2 offset0:32 offset1:208
	;; [unrolled: 1-line block ×3, first 2 shown]
	ds_read_b64 v[16:17], v93 offset:5632
	ds_read_b64 v[20:21], v93 offset:13376
                                        ; implicit-def: $vgpr22
                                        ; implicit-def: $vgpr18
	s_and_saveexec_b64 s[2:3], s[0:1]
	s_cbranch_execz .LBB0_5
; %bb.4:
	ds_read_b64 v[18:19], v93 offset:7040
	ds_read_b64 v[22:23], v93 offset:14784
.LBB0_5:
	s_or_b64 exec, exec, s[2:3]
	s_load_dwordx2 s[4:5], s[4:5], 0x8
	s_movk_i32 s2, 0x160
	s_waitcnt lgkmcnt(0)
	v_sub_f32_e32 v14, v6, v14
	v_sub_f32_e32 v15, v7, v15
	v_add_co_u32_e32 v29, vcc, 0xb0, v96
	v_add_co_u32_e32 v28, vcc, s2, v96
	s_movk_i32 s2, 0x370
	v_sub_f32_e32 v33, v4, v12
	v_sub_f32_e32 v34, v5, v13
	v_fma_f32 v12, v6, 2.0, -v14
	v_fma_f32 v13, v7, 2.0, -v15
	v_sub_f32_e32 v6, v0, v8
	v_sub_f32_e32 v7, v1, v9
	;; [unrolled: 1-line block ×4, first 2 shown]
	v_lshlrev_b32_e32 v24, 1, v96
	v_add_co_u32_e32 v30, vcc, s2, v96
	v_fma_f32 v31, v4, 2.0, -v33
	v_fma_f32 v32, v5, 2.0, -v34
	;; [unrolled: 1-line block ×6, first 2 shown]
	v_sub_f32_e32 v37, v16, v20
	v_sub_f32_e32 v38, v17, v21
	;; [unrolled: 1-line block ×4, first 2 shown]
	v_lshlrev_b32_e32 v99, 4, v96
	v_lshlrev_b32_e32 v100, 4, v29
	;; [unrolled: 1-line block ×3, first 2 shown]
	v_fma_f32 v35, v16, 2.0, -v37
	v_fma_f32 v36, v17, 2.0, -v38
	;; [unrolled: 1-line block ×4, first 2 shown]
	s_barrier
	ds_write_b128 v99, v[31:34]
	v_lshlrev_b32_e32 v25, 1, v29
	ds_write_b128 v100, v[12:15]
	v_lshlrev_b32_e32 v26, 1, v28
	ds_write_b128 v102, v[4:7]
	v_add_u32_e32 v108, 0x420, v24
	v_lshlrev_b32_e32 v4, 3, v24
	v_add_u32_e32 v110, 0x580, v24
	v_lshlrev_b32_e32 v101, 4, v30
	ds_write_b128 v4, v[8:11] offset:8448
	ds_write_b128 v4, v[35:38] offset:11264
	s_and_saveexec_b64 s[2:3], s[0:1]
	s_cbranch_execz .LBB0_7
; %bb.6:
	ds_write_b128 v101, v[0:3]
.LBB0_7:
	s_or_b64 exec, exec, s[2:3]
	v_add_u32_e32 v8, 0x1c00, v93
	s_waitcnt lgkmcnt(0)
	s_barrier
	ds_read2_b64 v[12:15], v8 offset0:72 offset1:248
	v_add_u32_e32 v8, 0xa00, v93
	v_add_u32_e32 v16, 0x2800, v93
	ds_read2_b64 v[4:7], v93 offset1:176
	ds_read2_b64 v[8:11], v8 offset0:32 offset1:208
	ds_read2_b64 v[16:19], v16 offset0:40 offset1:216
	ds_read_b64 v[20:21], v93 offset:5632
	ds_read_b64 v[22:23], v93 offset:13376
	s_and_saveexec_b64 s[2:3], s[0:1]
	s_cbranch_execz .LBB0_9
; %bb.8:
	ds_read_b64 v[0:1], v93 offset:7040
	ds_read_b64 v[2:3], v93 offset:14784
.LBB0_9:
	s_or_b64 exec, exec, s[2:3]
	v_and_b32_e32 v97, 1, v96
	v_lshlrev_b32_e32 v27, 3, v97
	global_load_dwordx2 v[87:88], v27, s[4:5]
	s_movk_i32 s2, 0x1fc
	s_movk_i32 s3, 0x3fc
	s_movk_i32 s14, 0x7fc
	v_and_or_b32 v24, v24, s2, v97
	v_and_or_b32 v25, v25, s3, v97
	;; [unrolled: 1-line block ×5, first 2 shown]
	v_lshlrev_b32_e32 v107, 3, v24
	v_lshlrev_b32_e32 v106, 3, v25
	;; [unrolled: 1-line block ×6, first 2 shown]
	s_waitcnt vmcnt(0) lgkmcnt(0)
	s_barrier
	v_mul_f32_e32 v24, v13, v88
	v_mul_f32_e32 v25, v12, v88
	;; [unrolled: 1-line block ×12, first 2 shown]
	v_fma_f32 v12, v12, v87, -v24
	v_fmac_f32_e32 v25, v13, v87
	v_fma_f32 v13, v14, v87, -v26
	v_fma_f32 v14, v16, v87, -v31
	;; [unrolled: 1-line block ×3, first 2 shown]
	v_fmac_f32_e32 v34, v19, v87
	v_fma_f32 v18, v22, v87, -v35
	v_fmac_f32_e32 v36, v23, v87
	v_fma_f32 v19, v2, v87, -v37
	v_fmac_f32_e32 v38, v3, v87
	v_fmac_f32_e32 v27, v15, v87
	;; [unrolled: 1-line block ×3, first 2 shown]
	v_sub_f32_e32 v2, v4, v12
	v_sub_f32_e32 v3, v5, v25
	;; [unrolled: 1-line block ×12, first 2 shown]
	v_fma_f32 v4, v4, 2.0, -v2
	v_fma_f32 v5, v5, 2.0, -v3
	;; [unrolled: 1-line block ×12, first 2 shown]
	ds_write2_b64 v107, v[4:5], v[2:3] offset1:2
	ds_write2_b64 v106, v[6:7], v[12:13] offset1:2
	;; [unrolled: 1-line block ×5, first 2 shown]
	s_and_saveexec_b64 s[2:3], s[0:1]
	s_cbranch_execz .LBB0_11
; %bb.10:
	v_and_or_b32 v0, v109, s14, v97
	v_lshlrev_b32_e32 v0, 3, v0
	ds_write2_b64 v0, v[26:27], v[22:23] offset1:2
.LBB0_11:
	s_or_b64 exec, exec, s[2:3]
	v_add_u32_e32 v0, 0xe00, v93
	s_waitcnt lgkmcnt(0)
	s_barrier
	ds_read2_b64 v[8:11], v0 offset0:36 offset1:212
	v_add_u32_e32 v0, 0x1c00, v93
	ds_read2_b64 v[12:15], v0 offset0:72 offset1:248
	v_add_u32_e32 v0, 0x2c00, v93
	ds_read2_b64 v[4:7], v93 offset1:176
	ds_read2_b64 v[16:19], v0 offset0:44 offset1:220
	s_movk_i32 s2, 0x84
	v_cmp_gt_u16_e64 s[2:3], s2, v96
	s_and_saveexec_b64 s[14:15], s[2:3]
	s_cbranch_execz .LBB0_13
; %bb.12:
	ds_read_b64 v[20:21], v93 offset:2816
	ds_read_b64 v[24:25], v93 offset:6688
	ds_read_b64 v[26:27], v93 offset:10560
	ds_read_b64 v[22:23], v93 offset:14432
.LBB0_13:
	s_or_b64 exec, exec, s[14:15]
	v_and_b32_e32 v98, 3, v96
	v_mad_u64_u32 v[30:31], s[14:15], v98, 24, s[4:5]
	s_movk_i32 s14, 0x3f0
	v_lshlrev_b32_e32 v113, 2, v28
	global_load_dwordx2 v[85:86], v[30:31], off offset:32
	global_load_dwordx4 v[0:3], v[30:31], off offset:16
	s_waitcnt vmcnt(0) lgkmcnt(0)
	s_barrier
	v_mul_f32_e32 v41, v22, v86
	v_mul_f32_e32 v30, v9, v1
	v_fma_f32 v30, v8, v0, -v30
	v_mul_f32_e32 v31, v8, v1
	v_mul_f32_e32 v8, v13, v3
	v_fma_f32 v32, v12, v2, -v8
	v_mul_f32_e32 v12, v12, v3
	v_mul_f32_e32 v8, v17, v86
	v_fmac_f32_e32 v12, v13, v2
	v_fma_f32 v13, v16, v85, -v8
	v_mul_f32_e32 v8, v11, v1
	v_fma_f32 v33, v10, v0, -v8
	v_mul_f32_e32 v8, v15, v3
	v_mul_f32_e32 v16, v16, v86
	v_fma_f32 v35, v14, v2, -v8
	v_mul_f32_e32 v8, v19, v86
	v_fmac_f32_e32 v31, v9, v0
	v_fmac_f32_e32 v16, v17, v85
	v_mul_f32_e32 v34, v10, v1
	v_mul_f32_e32 v36, v14, v3
	v_fma_f32 v37, v18, v85, -v8
	v_mul_f32_e32 v18, v18, v86
	v_mul_f32_e32 v10, v27, v3
	v_fmac_f32_e32 v36, v15, v2
	v_fmac_f32_e32 v18, v19, v85
	v_fma_f32 v38, v26, v2, -v10
	v_mul_f32_e32 v10, v23, v86
	v_sub_f32_e32 v17, v4, v32
	v_sub_f32_e32 v19, v5, v12
	;; [unrolled: 1-line block ×4, first 2 shown]
	v_fmac_f32_e32 v34, v11, v0
	v_fma_f32 v40, v22, v85, -v10
	v_fma_f32 v4, v4, 2.0, -v17
	v_fma_f32 v5, v5, 2.0, -v19
	;; [unrolled: 1-line block ×4, first 2 shown]
	v_mul_f32_e32 v8, v25, v1
	v_mul_f32_e32 v9, v24, v1
	v_sub_f32_e32 v10, v4, v10
	v_sub_f32_e32 v11, v5, v11
	v_lshlrev_b32_e32 v30, 2, v96
	v_fma_f32 v8, v24, v0, -v8
	v_fmac_f32_e32 v9, v25, v0
	v_fma_f32 v12, v4, 2.0, -v10
	v_fma_f32 v13, v5, 2.0, -v11
	v_sub_f32_e32 v14, v17, v14
	v_add_f32_e32 v15, v19, v15
	v_sub_f32_e32 v4, v6, v35
	v_sub_f32_e32 v5, v7, v36
	;; [unrolled: 1-line block ×4, first 2 shown]
	v_and_or_b32 v30, v30, s14, v98
	v_mul_f32_e32 v39, v26, v3
	v_fma_f32 v16, v17, 2.0, -v14
	v_fma_f32 v17, v19, 2.0, -v15
	;; [unrolled: 1-line block ×6, first 2 shown]
	v_lshlrev_b32_e32 v111, 3, v30
	v_fmac_f32_e32 v39, v27, v2
	v_fmac_f32_e32 v41, v23, v85
	v_sub_f32_e32 v18, v6, v18
	v_sub_f32_e32 v19, v7, v19
	;; [unrolled: 1-line block ×3, first 2 shown]
	v_add_f32_e32 v25, v5, v25
	ds_write2_b64 v111, v[12:13], v[16:17] offset1:4
	ds_write2_b64 v111, v[10:11], v[14:15] offset0:8 offset1:12
	v_lshlrev_b32_e32 v10, 2, v29
	s_movk_i32 s14, 0x7f0
	v_fma_f32 v22, v6, 2.0, -v18
	v_fma_f32 v23, v7, 2.0, -v19
	v_fma_f32 v26, v4, 2.0, -v24
	v_fma_f32 v27, v5, 2.0, -v25
	v_sub_f32_e32 v4, v20, v38
	v_sub_f32_e32 v6, v21, v39
	;; [unrolled: 1-line block ×4, first 2 shown]
	v_and_or_b32 v10, v10, s14, v98
	v_sub_f32_e32 v60, v4, v7
	v_add_f32_e32 v61, v6, v5
	v_lshlrev_b32_e32 v112, 3, v10
	ds_write2_b64 v112, v[22:23], v[26:27] offset1:4
	ds_write2_b64 v112, v[18:19], v[24:25] offset0:8 offset1:12
	s_and_saveexec_b64 s[14:15], s[2:3]
	s_cbranch_execz .LBB0_15
; %bb.14:
	v_fma_f32 v10, v4, 2.0, -v60
	v_fma_f32 v4, v20, 2.0, -v4
	;; [unrolled: 1-line block ×6, first 2 shown]
	v_sub_f32_e32 v5, v4, v5
	s_movk_i32 s16, 0xff0
	v_sub_f32_e32 v6, v12, v6
	v_fma_f32 v8, v4, 2.0, -v5
	v_and_or_b32 v4, v113, s16, v98
	v_fma_f32 v9, v12, 2.0, -v6
	v_lshlrev_b32_e32 v4, 3, v4
	ds_write2_b64 v4, v[8:9], v[10:11] offset1:4
	ds_write2_b64 v4, v[5:6], v[60:61] offset0:8 offset1:12
.LBB0_15:
	s_or_b64 exec, exec, s[14:15]
	v_mov_b32_e32 v25, s5
	v_and_b32_e32 v52, 15, v96
	s_movk_i32 s18, 0x50
	v_mov_b32_e32 v24, s4
	v_mad_u64_u32 v[26:27], s[4:5], v52, s18, v[24:25]
	s_waitcnt lgkmcnt(0)
	s_barrier
	global_load_dwordx4 v[16:19], v[26:27], off offset:112
	global_load_dwordx4 v[12:15], v[26:27], off offset:128
	;; [unrolled: 1-line block ×5, first 2 shown]
	ds_read2_b64 v[26:29], v93 offset1:176
	v_add_u32_e32 v46, 0xa00, v93
	ds_read_b64 v[42:43], v93 offset:14080
	v_add_u32_e32 v47, 0x1400, v93
	v_add_u32_e32 v45, 0x2000, v93
	;; [unrolled: 1-line block ×3, first 2 shown]
	ds_read2_b64 v[30:33], v46 offset0:32 offset1:208
	ds_read2_b64 v[34:37], v47 offset0:64 offset1:240
	;; [unrolled: 1-line block ×3, first 2 shown]
	ds_read2_b64 v[48:51], v44 offset1:176
	s_mov_b32 s4, 0x3f575c64
	s_mov_b32 s5, 0x3ed4b147
	;; [unrolled: 1-line block ×5, first 2 shown]
	s_waitcnt vmcnt(0) lgkmcnt(0)
	s_barrier
	v_mul_f32_e32 v53, v29, v17
	v_mul_f32_e32 v54, v28, v17
	v_mul_f32_e32 v55, v31, v19
	v_mul_f32_e32 v56, v30, v19
	v_mul_f32_e32 v57, v33, v13
	v_mul_f32_e32 v59, v35, v15
	v_mul_f32_e32 v90, v39, v11
	v_mul_f32_e32 v91, v38, v11
	v_mul_f32_e32 v119, v43, v23
	v_fma_f32 v28, v28, v16, -v53
	v_fmac_f32_e32 v54, v29, v16
	v_mul_f32_e32 v58, v32, v13
	v_mul_f32_e32 v62, v34, v15
	;; [unrolled: 1-line block ×3, first 2 shown]
	v_fma_f32 v30, v30, v18, -v55
	v_fmac_f32_e32 v56, v31, v18
	v_fma_f32 v31, v32, v12, -v57
	v_fma_f32 v32, v34, v14, -v59
	;; [unrolled: 1-line block ×3, first 2 shown]
	v_fmac_f32_e32 v91, v39, v10
	v_fma_f32 v29, v42, v22, -v119
	v_add_f32_e32 v38, v26, v28
	v_add_f32_e32 v39, v27, v54
	v_mul_f32_e32 v114, v40, v5
	v_mul_f32_e32 v120, v42, v23
	v_fmac_f32_e32 v58, v33, v12
	v_fmac_f32_e32 v62, v35, v14
	v_fma_f32 v35, v40, v4, -v92
	v_add_f32_e32 v40, v28, v29
	v_sub_f32_e32 v42, v28, v29
	v_add_f32_e32 v28, v38, v30
	v_add_f32_e32 v38, v39, v56
	v_mul_f32_e32 v63, v37, v9
	v_mul_f32_e32 v89, v36, v9
	v_add_f32_e32 v28, v28, v31
	v_add_f32_e32 v38, v38, v58
	v_fma_f32 v33, v36, v8, -v63
	v_fmac_f32_e32 v89, v37, v8
	v_add_f32_e32 v28, v28, v32
	v_add_f32_e32 v38, v38, v62
	;; [unrolled: 1-line block ×4, first 2 shown]
	v_mul_f32_e32 v115, v49, v7
	v_mul_f32_e32 v116, v48, v7
	v_fmac_f32_e32 v114, v41, v4
	v_add_f32_e32 v28, v28, v34
	v_add_f32_e32 v38, v38, v91
	v_mul_f32_e32 v117, v51, v21
	v_mul_f32_e32 v118, v50, v21
	v_fma_f32 v36, v48, v6, -v115
	v_fmac_f32_e32 v116, v49, v6
	v_add_f32_e32 v28, v28, v35
	v_add_f32_e32 v38, v38, v114
	v_fma_f32 v37, v50, v20, -v117
	v_fmac_f32_e32 v118, v51, v20
	v_fmac_f32_e32 v120, v43, v22
	v_add_f32_e32 v28, v28, v36
	v_add_f32_e32 v38, v38, v116
	;; [unrolled: 1-line block ×3, first 2 shown]
	v_sub_f32_e32 v43, v54, v120
	v_mul_f32_e32 v48, 0xbf0a6770, v42
	v_add_f32_e32 v28, v28, v37
	v_add_f32_e32 v38, v38, v118
	v_mul_f32_e32 v53, 0xbf68dda4, v42
	v_mul_f32_e32 v59, 0xbf7d64f0, v42
	;; [unrolled: 1-line block ×5, first 2 shown]
	v_mov_b32_e32 v50, v48
	v_add_f32_e32 v28, v28, v29
	v_add_f32_e32 v29, v38, v120
	v_fma_f32 v38, v41, s4, -v48
	v_mul_f32_e32 v48, 0xbf68dda4, v43
	v_mov_b32_e32 v54, v53
	v_mul_f32_e32 v55, 0xbf7d64f0, v43
	v_mov_b32_e32 v63, v59
	v_mul_f32_e32 v90, 0xbf4178ce, v43
	v_mov_b32_e32 v117, v115
	v_mul_f32_e32 v43, 0xbe903f40, v43
	v_mov_b32_e32 v120, v42
	v_fma_f32 v49, v40, s4, -v39
	v_fmac_f32_e32 v39, 0x3f575c64, v40
	v_fmac_f32_e32 v50, 0x3f575c64, v41
	v_fma_f32 v51, v40, s5, -v48
	v_fmac_f32_e32 v54, 0x3ed4b147, v41
	v_fmac_f32_e32 v48, 0x3ed4b147, v40
	v_fma_f32 v53, v41, s5, -v53
	v_fma_f32 v57, v40, s14, -v55
	v_fmac_f32_e32 v63, 0xbe11bafb, v41
	v_fmac_f32_e32 v55, 0xbe11bafb, v40
	v_fma_f32 v59, v41, s14, -v59
	;; [unrolled: 4-line block ×4, first 2 shown]
	v_add_f32_e32 v50, v27, v50
	v_add_f32_e32 v38, v27, v38
	;; [unrolled: 1-line block ×11, first 2 shown]
	v_sub_f32_e32 v30, v30, v37
	v_sub_f32_e32 v37, v56, v118
	v_mul_f32_e32 v42, 0xbf68dda4, v37
	v_add_f32_e32 v49, v26, v49
	v_add_f32_e32 v39, v26, v39
	v_add_f32_e32 v51, v26, v51
	v_add_f32_e32 v48, v26, v48
	v_add_f32_e32 v57, v26, v57
	v_add_f32_e32 v55, v26, v55
	v_add_f32_e32 v92, v26, v92
	v_add_f32_e32 v90, v26, v90
	v_add_f32_e32 v119, v26, v119
	v_add_f32_e32 v26, v26, v43
	v_fma_f32 v43, v40, s5, -v42
	v_add_f32_e32 v41, v56, v118
	v_add_f32_e32 v43, v43, v49
	v_mul_f32_e32 v49, 0xbf68dda4, v30
	v_fmac_f32_e32 v42, 0x3ed4b147, v40
	v_add_f32_e32 v39, v42, v39
	v_fma_f32 v42, v41, s5, -v49
	v_add_f32_e32 v38, v42, v38
	v_mul_f32_e32 v42, 0xbf4178ce, v37
	v_mov_b32_e32 v56, v49
	v_fma_f32 v49, v40, s15, -v42
	v_fmac_f32_e32 v56, 0x3ed4b147, v41
	v_add_f32_e32 v49, v49, v51
	v_mul_f32_e32 v51, 0xbf4178ce, v30
	v_add_f32_e32 v50, v56, v50
	v_mov_b32_e32 v56, v51
	v_fmac_f32_e32 v42, 0xbf27a4f4, v40
	v_fmac_f32_e32 v56, 0xbf27a4f4, v41
	v_add_f32_e32 v42, v42, v48
	v_fma_f32 v48, v41, s15, -v51
	v_mul_f32_e32 v51, 0x3e903f40, v37
	v_add_f32_e32 v54, v56, v54
	v_add_f32_e32 v48, v48, v53
	v_fma_f32 v53, v40, s16, -v51
	v_mul_f32_e32 v56, 0x3e903f40, v30
	v_add_f32_e32 v53, v53, v57
	v_mov_b32_e32 v57, v56
	v_fmac_f32_e32 v51, 0xbf75a155, v40
	v_fmac_f32_e32 v57, 0xbf75a155, v41
	v_add_f32_e32 v51, v51, v55
	v_fma_f32 v55, v41, s16, -v56
	v_mul_f32_e32 v56, 0x3f7d64f0, v37
	v_add_f32_e32 v57, v57, v63
	v_add_f32_e32 v55, v55, v59
	v_fma_f32 v59, v40, s14, -v56
	v_mul_f32_e32 v63, 0x3f7d64f0, v30
	v_add_f32_e32 v59, v59, v92
	v_mov_b32_e32 v92, v63
	v_fma_f32 v63, v41, s14, -v63
	v_mul_f32_e32 v30, 0x3f0a6770, v30
	v_add_f32_e32 v63, v63, v115
	v_mov_b32_e32 v115, v30
	v_fma_f32 v30, v41, s4, -v30
	v_fmac_f32_e32 v56, 0xbe11bafb, v40
	v_mul_f32_e32 v37, 0x3f0a6770, v37
	v_add_f32_e32 v27, v30, v27
	v_add_f32_e32 v30, v31, v36
	v_sub_f32_e32 v31, v31, v36
	v_sub_f32_e32 v36, v58, v116
	v_add_f32_e32 v56, v56, v90
	v_fma_f32 v90, v40, s4, -v37
	v_fmac_f32_e32 v37, 0x3f575c64, v40
	v_mul_f32_e32 v40, 0xbf7d64f0, v36
	v_fmac_f32_e32 v92, 0xbe11bafb, v41
	v_fmac_f32_e32 v115, 0x3f575c64, v41
	v_fma_f32 v41, v30, s14, -v40
	v_add_f32_e32 v26, v37, v26
	v_add_f32_e32 v37, v58, v116
	;; [unrolled: 1-line block ×3, first 2 shown]
	v_mul_f32_e32 v43, 0xbf7d64f0, v31
	v_fmac_f32_e32 v40, 0xbe11bafb, v30
	v_add_f32_e32 v39, v40, v39
	v_fma_f32 v40, v37, s14, -v43
	v_add_f32_e32 v38, v40, v38
	v_mul_f32_e32 v40, 0x3e903f40, v36
	v_mov_b32_e32 v58, v43
	v_fma_f32 v43, v30, s16, -v40
	v_add_f32_e32 v43, v43, v49
	v_mul_f32_e32 v49, 0x3e903f40, v31
	v_fmac_f32_e32 v40, 0xbf75a155, v30
	v_add_f32_e32 v40, v40, v42
	v_fma_f32 v42, v37, s16, -v49
	v_fmac_f32_e32 v58, 0xbe11bafb, v37
	v_add_f32_e32 v42, v42, v48
	v_mul_f32_e32 v48, 0x3f68dda4, v36
	v_add_f32_e32 v50, v58, v50
	v_mov_b32_e32 v58, v49
	v_fma_f32 v49, v30, s5, -v48
	v_fmac_f32_e32 v58, 0xbf75a155, v37
	v_add_f32_e32 v49, v49, v53
	v_mul_f32_e32 v53, 0x3f68dda4, v31
	v_add_f32_e32 v54, v58, v54
	v_mov_b32_e32 v58, v53
	v_fmac_f32_e32 v48, 0x3ed4b147, v30
	v_fmac_f32_e32 v58, 0x3ed4b147, v37
	v_add_f32_e32 v48, v48, v51
	v_fma_f32 v51, v37, s5, -v53
	v_mul_f32_e32 v53, 0xbf0a6770, v36
	v_add_f32_e32 v57, v58, v57
	v_add_f32_e32 v51, v51, v55
	v_fma_f32 v55, v30, s4, -v53
	v_mul_f32_e32 v58, 0xbf0a6770, v31
	v_fmac_f32_e32 v53, 0x3f575c64, v30
	v_mul_f32_e32 v36, 0xbf4178ce, v36
	v_mul_f32_e32 v31, 0xbf4178ce, v31
	v_add_f32_e32 v55, v55, v59
	v_mov_b32_e32 v59, v58
	v_add_f32_e32 v53, v53, v56
	v_fma_f32 v56, v37, s4, -v58
	v_fma_f32 v58, v30, s15, -v36
	v_fmac_f32_e32 v36, 0xbf27a4f4, v30
	v_fma_f32 v30, v37, s15, -v31
	v_add_f32_e32 v27, v30, v27
	v_add_f32_e32 v30, v32, v35
	v_sub_f32_e32 v32, v32, v35
	v_sub_f32_e32 v35, v62, v114
	v_add_f32_e32 v56, v56, v63
	v_mov_b32_e32 v63, v31
	v_add_f32_e32 v26, v36, v26
	v_mul_f32_e32 v36, 0xbf4178ce, v35
	v_fmac_f32_e32 v59, 0x3f575c64, v37
	v_fmac_f32_e32 v63, 0xbf27a4f4, v37
	v_fma_f32 v37, v30, s15, -v36
	v_add_f32_e32 v31, v62, v114
	v_add_f32_e32 v37, v37, v41
	v_mul_f32_e32 v41, 0xbf4178ce, v32
	v_fmac_f32_e32 v36, 0xbf27a4f4, v30
	v_add_f32_e32 v36, v36, v39
	v_fma_f32 v39, v31, s15, -v41
	v_add_f32_e32 v38, v39, v38
	v_mul_f32_e32 v39, 0x3f7d64f0, v35
	v_mov_b32_e32 v62, v41
	v_fma_f32 v41, v30, s14, -v39
	v_add_f32_e32 v41, v41, v43
	v_mul_f32_e32 v43, 0x3f7d64f0, v32
	v_fmac_f32_e32 v39, 0xbe11bafb, v30
	v_add_f32_e32 v39, v39, v40
	v_fma_f32 v40, v31, s14, -v43
	v_fmac_f32_e32 v62, 0xbf27a4f4, v31
	v_add_f32_e32 v40, v40, v42
	v_mul_f32_e32 v42, 0xbf0a6770, v35
	v_add_f32_e32 v50, v62, v50
	v_mov_b32_e32 v62, v43
	v_fma_f32 v43, v30, s4, -v42
	v_fmac_f32_e32 v62, 0xbe11bafb, v31
	v_add_f32_e32 v43, v43, v49
	v_mul_f32_e32 v49, 0xbf0a6770, v32
	v_fmac_f32_e32 v42, 0x3f575c64, v30
	v_add_f32_e32 v54, v62, v54
	v_mov_b32_e32 v62, v49
	v_add_f32_e32 v42, v42, v48
	v_fma_f32 v48, v31, s4, -v49
	v_mul_f32_e32 v49, 0xbe903f40, v35
	v_add_f32_e32 v48, v48, v51
	v_fma_f32 v51, v30, s16, -v49
	v_add_f32_e32 v51, v51, v55
	v_mul_f32_e32 v55, 0xbe903f40, v32
	v_fmac_f32_e32 v49, 0xbf75a155, v30
	v_add_f32_e32 v92, v92, v117
	v_add_f32_e32 v90, v90, v119
	v_fmac_f32_e32 v62, 0x3f575c64, v31
	v_add_f32_e32 v49, v49, v53
	v_fma_f32 v53, v31, s16, -v55
	v_mul_f32_e32 v35, 0x3f68dda4, v35
	v_mul_f32_e32 v32, 0x3f68dda4, v32
	v_add_f32_e32 v115, v115, v120
	v_add_f32_e32 v59, v59, v92
	v_add_f32_e32 v58, v58, v90
	v_add_f32_e32 v57, v62, v57
	v_mov_b32_e32 v62, v55
	v_add_f32_e32 v53, v53, v56
	v_fma_f32 v55, v30, s5, -v35
	v_mov_b32_e32 v56, v32
	v_fmac_f32_e32 v35, 0x3ed4b147, v30
	v_sub_f32_e32 v92, v33, v34
	v_add_f32_e32 v63, v63, v115
	v_fmac_f32_e32 v62, 0xbf75a155, v31
	v_add_f32_e32 v55, v55, v58
	v_fmac_f32_e32 v56, 0x3ed4b147, v31
	v_add_f32_e32 v58, v35, v26
	v_fma_f32 v26, v31, s5, -v32
	v_add_f32_e32 v90, v89, v91
	v_sub_f32_e32 v89, v89, v91
	v_mul_f32_e32 v31, 0xbe903f40, v92
	v_add_f32_e32 v59, v62, v59
	v_add_f32_e32 v56, v56, v63
	;; [unrolled: 1-line block ×4, first 2 shown]
	v_mul_f32_e32 v30, 0xbe903f40, v89
	v_mov_b32_e32 v27, v31
	v_fma_f32 v31, v90, s16, -v31
	v_fma_f32 v26, v63, s16, -v30
	v_fmac_f32_e32 v30, 0xbf75a155, v63
	v_add_f32_e32 v31, v31, v38
	v_mul_f32_e32 v38, 0xbf4178ce, v89
	v_add_f32_e32 v30, v30, v36
	v_mul_f32_e32 v34, 0x3f0a6770, v89
	v_mul_f32_e32 v35, 0x3f0a6770, v92
	v_fma_f32 v36, v63, s15, -v38
	v_fmac_f32_e32 v38, 0xbf27a4f4, v63
	v_fma_f32 v32, v63, s4, -v34
	v_mov_b32_e32 v33, v35
	v_fma_f32 v35, v90, s4, -v35
	v_add_f32_e32 v36, v36, v43
	v_add_f32_e32 v38, v38, v42
	v_mul_f32_e32 v42, 0x3f68dda4, v89
	v_mul_f32_e32 v43, 0x3f68dda4, v92
	v_add_f32_e32 v32, v32, v41
	v_fmac_f32_e32 v34, 0x3f575c64, v63
	v_add_f32_e32 v35, v35, v40
	v_fma_f32 v40, v63, s5, -v42
	v_mov_b32_e32 v41, v43
	v_fma_f32 v43, v90, s5, -v43
	v_fmac_f32_e32 v27, 0xbf75a155, v90
	v_add_f32_e32 v34, v34, v39
	v_mul_f32_e32 v39, 0xbf4178ce, v92
	v_add_f32_e32 v40, v40, v51
	v_fmac_f32_e32 v42, 0x3ed4b147, v63
	v_add_f32_e32 v43, v43, v53
	v_mul_f32_e32 v51, 0xbf7d64f0, v92
	v_lshrrev_b32_e32 v53, 4, v96
	v_add_f32_e32 v26, v26, v37
	v_add_f32_e32 v27, v27, v50
	v_mov_b32_e32 v37, v39
	v_fma_f32 v39, v90, s15, -v39
	v_add_f32_e32 v42, v42, v49
	v_mul_f32_e32 v50, 0xbf7d64f0, v89
	v_mov_b32_e32 v49, v51
	v_mul_u32_u24_e32 v53, 0xb0, v53
	v_add_f32_e32 v39, v39, v48
	v_fma_f32 v48, v63, s14, -v50
	v_fmac_f32_e32 v49, 0xbe11bafb, v90
	v_or_b32_e32 v52, v53, v52
	v_fmac_f32_e32 v33, 0x3f575c64, v90
	v_fmac_f32_e32 v37, 0xbf27a4f4, v90
	v_fmac_f32_e32 v41, 0x3ed4b147, v90
	v_add_f32_e32 v48, v48, v55
	v_add_f32_e32 v49, v49, v56
	v_fmac_f32_e32 v50, 0xbe11bafb, v63
	v_fma_f32 v51, v90, s14, -v51
	v_lshlrev_b32_e32 v114, 3, v52
	v_add_f32_e32 v33, v33, v54
	v_add_f32_e32 v37, v37, v57
	v_add_f32_e32 v41, v41, v59
	v_add_f32_e32 v50, v50, v58
	v_add_f32_e32 v51, v51, v62
	ds_write2_b64 v114, v[28:29], v[26:27] offset1:16
	ds_write2_b64 v114, v[32:33], v[36:37] offset0:32 offset1:48
	ds_write2_b64 v114, v[40:41], v[48:49] offset0:64 offset1:80
	;; [unrolled: 1-line block ×4, first 2 shown]
	ds_write_b64 v114, v[30:31] offset:1280
	v_mad_u64_u32 v[48:49], s[18:19], v96, s18, v[24:25]
	s_waitcnt lgkmcnt(0)
	s_barrier
	global_load_dwordx4 v[36:39], v[48:49], off offset:1392
	global_load_dwordx4 v[32:35], v[48:49], off offset:1408
	;; [unrolled: 1-line block ×5, first 2 shown]
	ds_read2_b64 v[48:51], v93 offset1:176
	ds_read2_b64 v[52:55], v46 offset0:32 offset1:208
	ds_read2_b64 v[56:59], v47 offset0:64 offset1:240
	;; [unrolled: 1-line block ×3, first 2 shown]
	ds_read2_b64 v[115:118], v44 offset1:176
	ds_read_b64 v[62:63], v93 offset:14080
	s_waitcnt vmcnt(4) lgkmcnt(5)
	v_mul_f32_e32 v119, v51, v37
	v_fma_f32 v119, v50, v36, -v119
	v_mul_f32_e32 v50, v50, v37
	v_fmac_f32_e32 v50, v51, v36
	s_waitcnt lgkmcnt(4)
	v_mul_f32_e32 v51, v53, v39
	v_fma_f32 v51, v52, v38, -v51
	v_mul_f32_e32 v52, v52, v39
	v_fmac_f32_e32 v52, v53, v38
	s_waitcnt vmcnt(3)
	v_mul_f32_e32 v53, v55, v33
	v_fma_f32 v53, v54, v32, -v53
	v_mul_f32_e32 v54, v54, v33
	v_fmac_f32_e32 v54, v55, v32
	s_waitcnt lgkmcnt(3)
	v_mul_f32_e32 v55, v57, v35
	v_fma_f32 v55, v56, v34, -v55
	v_mul_f32_e32 v56, v56, v35
	v_fmac_f32_e32 v56, v57, v34
	s_waitcnt vmcnt(2)
	;; [unrolled: 10-line block ×4, first 2 shown]
	v_mul_f32_e32 v116, v118, v41
	v_fma_f32 v116, v117, v40, -v116
	v_mul_f32_e32 v117, v117, v41
	v_fmac_f32_e32 v117, v118, v40
	s_waitcnt lgkmcnt(0)
	v_mul_f32_e32 v118, v63, v43
	v_fma_f32 v118, v62, v42, -v118
	v_mul_f32_e32 v62, v62, v43
	v_fmac_f32_e32 v62, v63, v42
	v_sub_f32_e32 v120, v50, v62
	v_sub_f32_e32 v130, v119, v118
	v_add_f32_e32 v63, v119, v118
	v_mul_f32_e32 v121, 0xbf0a6770, v120
	v_mul_f32_e32 v123, 0xbf68dda4, v120
	;; [unrolled: 1-line block ×10, first 2 shown]
	v_fma_f32 v122, v63, s4, -v121
	v_fmac_f32_e32 v121, 0x3f575c64, v63
	v_fma_f32 v124, v63, s5, -v123
	v_fmac_f32_e32 v123, 0x3ed4b147, v63
	;; [unrolled: 2-line block ×5, first 2 shown]
	v_add_f32_e32 v63, v50, v62
	v_mov_b32_e32 v132, v131
	v_mov_b32_e32 v134, v133
	;; [unrolled: 1-line block ×5, first 2 shown]
	v_fmac_f32_e32 v132, 0x3f575c64, v63
	v_fma_f32 v131, v63, s4, -v131
	v_fmac_f32_e32 v134, 0x3ed4b147, v63
	v_fma_f32 v133, v63, s5, -v133
	;; [unrolled: 2-line block ×5, first 2 shown]
	v_add_f32_e32 v50, v49, v50
	v_add_f32_e32 v130, v49, v132
	;; [unrolled: 1-line block ×39, first 2 shown]
	v_sub_f32_e32 v52, v52, v117
	v_add_f32_e32 v48, v48, v116
	v_add_f32_e32 v50, v51, v116
	v_sub_f32_e32 v51, v51, v116
	v_mul_f32_e32 v116, 0xbf68dda4, v52
	v_fma_f32 v117, v50, s5, -v116
	v_fmac_f32_e32 v116, 0x3ed4b147, v50
	v_add_f32_e32 v48, v48, v118
	v_mul_f32_e32 v118, 0xbf68dda4, v51
	v_add_f32_e32 v116, v116, v121
	v_mul_f32_e32 v121, 0xbf4178ce, v52
	v_add_f32_e32 v117, v117, v122
	v_mov_b32_e32 v119, v118
	v_fma_f32 v122, v50, s15, -v121
	v_fmac_f32_e32 v119, 0x3ed4b147, v62
	v_add_f32_e32 v122, v122, v124
	v_mul_f32_e32 v124, 0xbf4178ce, v51
	v_fmac_f32_e32 v121, 0xbf27a4f4, v50
	v_add_f32_e32 v119, v119, v130
	v_fma_f32 v118, v62, s5, -v118
	v_mov_b32_e32 v130, v124
	v_add_f32_e32 v121, v121, v123
	v_fma_f32 v123, v62, s15, -v124
	v_mul_f32_e32 v124, 0x3e903f40, v52
	v_add_f32_e32 v118, v118, v131
	v_fma_f32 v131, v50, s16, -v124
	v_fmac_f32_e32 v130, 0xbf27a4f4, v62
	v_add_f32_e32 v126, v131, v126
	v_mul_f32_e32 v131, 0x3e903f40, v51
	v_fmac_f32_e32 v124, 0xbf75a155, v50
	v_add_f32_e32 v130, v130, v132
	v_mov_b32_e32 v132, v131
	v_add_f32_e32 v124, v124, v125
	v_fma_f32 v125, v62, s16, -v131
	v_mul_f32_e32 v131, 0x3f7d64f0, v52
	v_add_f32_e32 v123, v123, v133
	v_fma_f32 v133, v50, s14, -v131
	v_fmac_f32_e32 v132, 0xbf75a155, v62
	v_add_f32_e32 v128, v133, v128
	v_mul_f32_e32 v133, 0x3f7d64f0, v51
	v_fmac_f32_e32 v131, 0xbe11bafb, v50
	v_mul_f32_e32 v52, 0x3f0a6770, v52
	v_add_f32_e32 v132, v132, v134
	v_mov_b32_e32 v134, v133
	v_add_f32_e32 v127, v131, v127
	v_fma_f32 v131, v62, s14, -v133
	v_fma_f32 v133, v50, s4, -v52
	v_mul_f32_e32 v51, 0x3f0a6770, v51
	v_add_f32_e32 v129, v133, v129
	v_mov_b32_e32 v133, v51
	v_fmac_f32_e32 v134, 0xbe11bafb, v62
	v_fmac_f32_e32 v133, 0x3f575c64, v62
	;; [unrolled: 1-line block ×3, first 2 shown]
	v_fma_f32 v51, v62, s4, -v51
	v_add_f32_e32 v62, v54, v115
	v_sub_f32_e32 v54, v54, v115
	v_add_f32_e32 v50, v52, v120
	v_add_f32_e32 v51, v51, v63
	v_add_f32_e32 v52, v53, v92
	v_sub_f32_e32 v53, v53, v92
	v_mul_f32_e32 v63, 0xbf7d64f0, v54
	v_fma_f32 v92, v52, s14, -v63
	v_mul_f32_e32 v115, 0xbf7d64f0, v53
	v_add_f32_e32 v92, v92, v117
	v_mov_b32_e32 v117, v115
	v_fmac_f32_e32 v63, 0xbe11bafb, v52
	v_fmac_f32_e32 v117, 0xbe11bafb, v62
	v_add_f32_e32 v63, v63, v116
	v_fma_f32 v115, v62, s14, -v115
	v_mul_f32_e32 v116, 0x3e903f40, v54
	v_add_f32_e32 v117, v117, v119
	v_add_f32_e32 v115, v115, v118
	v_fma_f32 v118, v52, s16, -v116
	v_mul_f32_e32 v119, 0x3e903f40, v53
	v_fmac_f32_e32 v116, 0xbf75a155, v52
	v_mov_b32_e32 v120, v119
	v_add_f32_e32 v116, v116, v121
	v_fma_f32 v119, v62, s16, -v119
	v_mul_f32_e32 v121, 0x3f68dda4, v54
	v_add_f32_e32 v118, v118, v122
	v_add_f32_e32 v119, v119, v123
	v_fma_f32 v122, v52, s5, -v121
	v_mul_f32_e32 v123, 0x3f68dda4, v53
	v_fmac_f32_e32 v121, 0x3ed4b147, v52
	v_add_f32_e32 v125, v125, v135
	v_add_f32_e32 v122, v122, v126
	v_mov_b32_e32 v126, v123
	v_add_f32_e32 v121, v121, v124
	v_fma_f32 v123, v62, s5, -v123
	v_mul_f32_e32 v124, 0xbf0a6770, v54
	v_add_f32_e32 v123, v123, v125
	v_fma_f32 v125, v52, s4, -v124
	v_fmac_f32_e32 v120, 0xbf75a155, v62
	v_add_f32_e32 v125, v125, v128
	v_mul_f32_e32 v128, 0xbf0a6770, v53
	v_fmac_f32_e32 v124, 0x3f575c64, v52
	v_mul_f32_e32 v54, 0xbf4178ce, v54
	v_mul_f32_e32 v53, 0xbf4178ce, v53
	v_add_f32_e32 v120, v120, v130
	v_mov_b32_e32 v130, v128
	v_add_f32_e32 v124, v124, v127
	v_fma_f32 v127, v62, s4, -v128
	v_fma_f32 v128, v52, s15, -v54
	v_fmac_f32_e32 v54, 0xbf27a4f4, v52
	v_fma_f32 v52, v62, s15, -v53
	v_add_f32_e32 v50, v54, v50
	v_add_f32_e32 v51, v52, v51
	;; [unrolled: 1-line block ×3, first 2 shown]
	v_sub_f32_e32 v54, v55, v90
	v_sub_f32_e32 v55, v56, v91
	v_add_f32_e32 v128, v128, v129
	v_mov_b32_e32 v129, v53
	v_add_f32_e32 v53, v56, v91
	v_mul_f32_e32 v56, 0xbf4178ce, v55
	v_fmac_f32_e32 v126, 0x3ed4b147, v62
	v_fmac_f32_e32 v130, 0x3f575c64, v62
	;; [unrolled: 1-line block ×3, first 2 shown]
	v_fma_f32 v62, v52, s15, -v56
	v_mul_f32_e32 v90, 0xbf4178ce, v54
	v_fmac_f32_e32 v56, 0xbf27a4f4, v52
	v_mov_b32_e32 v91, v90
	v_add_f32_e32 v56, v56, v63
	v_fma_f32 v63, v53, s15, -v90
	v_mul_f32_e32 v90, 0x3f7d64f0, v55
	v_add_f32_e32 v62, v62, v92
	v_fmac_f32_e32 v91, 0xbf27a4f4, v53
	v_add_f32_e32 v63, v63, v115
	v_fma_f32 v92, v52, s14, -v90
	v_mul_f32_e32 v115, 0x3f7d64f0, v54
	v_fmac_f32_e32 v90, 0xbe11bafb, v52
	v_add_f32_e32 v91, v91, v117
	v_mov_b32_e32 v117, v115
	v_add_f32_e32 v90, v90, v116
	v_fma_f32 v115, v53, s14, -v115
	v_mul_f32_e32 v116, 0xbf0a6770, v55
	v_add_f32_e32 v92, v92, v118
	v_fmac_f32_e32 v117, 0xbe11bafb, v53
	v_add_f32_e32 v115, v115, v119
	v_fma_f32 v118, v52, s4, -v116
	v_mul_f32_e32 v119, 0xbf0a6770, v54
	v_fmac_f32_e32 v116, 0x3f575c64, v52
	v_add_f32_e32 v117, v117, v120
	v_mov_b32_e32 v120, v119
	v_add_f32_e32 v116, v116, v121
	v_fma_f32 v119, v53, s4, -v119
	v_mul_f32_e32 v121, 0xbe903f40, v55
	v_add_f32_e32 v131, v131, v137
	v_add_f32_e32 v118, v118, v122
	;; [unrolled: 1-line block ×3, first 2 shown]
	v_fma_f32 v122, v52, s16, -v121
	v_mul_f32_e32 v123, 0xbe903f40, v54
	v_add_f32_e32 v134, v134, v136
	v_add_f32_e32 v133, v133, v138
	;; [unrolled: 1-line block ×4, first 2 shown]
	v_fmac_f32_e32 v120, 0x3f575c64, v53
	v_add_f32_e32 v122, v122, v125
	v_mov_b32_e32 v125, v123
	v_fma_f32 v123, v53, s16, -v123
	v_mul_f32_e32 v55, 0x3f68dda4, v55
	v_mul_f32_e32 v54, 0x3f68dda4, v54
	v_add_f32_e32 v130, v130, v134
	v_add_f32_e32 v129, v129, v133
	;; [unrolled: 1-line block ×3, first 2 shown]
	v_fmac_f32_e32 v125, 0xbf75a155, v53
	v_add_f32_e32 v123, v123, v127
	v_fma_f32 v126, v52, s5, -v55
	v_mov_b32_e32 v127, v54
	v_fmac_f32_e32 v55, 0x3ed4b147, v52
	v_sub_f32_e32 v133, v58, v89
	v_add_f32_e32 v125, v125, v130
	v_fmac_f32_e32 v121, 0xbf75a155, v52
	v_add_f32_e32 v126, v126, v128
	v_fmac_f32_e32 v127, 0x3ed4b147, v53
	v_add_f32_e32 v128, v55, v50
	v_fma_f32 v50, v53, s5, -v54
	v_add_f32_e32 v130, v57, v59
	v_sub_f32_e32 v132, v57, v59
	v_mul_f32_e32 v52, 0xbe903f40, v133
	v_add_f32_e32 v127, v127, v129
	v_add_f32_e32 v129, v50, v51
	;; [unrolled: 1-line block ×3, first 2 shown]
	v_fma_f32 v50, v130, s16, -v52
	v_mul_f32_e32 v53, 0xbe903f40, v132
	v_fmac_f32_e32 v52, 0xbf75a155, v130
	v_add_f32_e32 v50, v50, v62
	v_add_f32_e32 v62, v52, v56
	v_fma_f32 v52, v131, s16, -v53
	v_mul_f32_e32 v54, 0x3f0a6770, v133
	v_mul_f32_e32 v55, 0x3f0a6770, v132
	v_mul_f32_e32 v58, 0xbf4178ce, v133
	v_mov_b32_e32 v51, v53
	v_add_f32_e32 v63, v52, v63
	v_fma_f32 v52, v130, s4, -v54
	v_mov_b32_e32 v53, v55
	v_fma_f32 v56, v130, s15, -v58
	v_fmac_f32_e32 v51, 0xbf75a155, v131
	v_add_f32_e32 v52, v52, v92
	v_fmac_f32_e32 v53, 0x3f575c64, v131
	v_fmac_f32_e32 v54, 0x3f575c64, v130
	v_add_f32_e32 v56, v56, v118
	v_mul_f32_e32 v59, 0xbf4178ce, v132
	v_fmac_f32_e32 v58, 0xbf27a4f4, v130
	v_mul_f32_e32 v92, 0x3f68dda4, v132
	v_mul_f32_e32 v118, 0xbf7d64f0, v132
	v_add_f32_e32 v121, v121, v124
	v_mov_b32_e32 v124, s17
	v_add_f32_e32 v51, v51, v91
	v_add_f32_e32 v53, v53, v117
	;; [unrolled: 1-line block ×3, first 2 shown]
	v_fma_f32 v55, v131, s4, -v55
	v_mov_b32_e32 v57, v59
	v_add_f32_e32 v58, v58, v116
	v_mul_f32_e32 v91, 0x3f68dda4, v133
	v_mov_b32_e32 v90, v92
	v_mul_f32_e32 v117, 0xbf7d64f0, v133
	v_mov_b32_e32 v116, v118
	v_addc_co_u32_e64 v124, vcc, 0, v124, s[6:7]
	v_add_f32_e32 v55, v55, v115
	v_fmac_f32_e32 v57, 0xbf27a4f4, v131
	v_fma_f32 v59, v131, s15, -v59
	v_fma_f32 v89, v130, s5, -v91
	v_fmac_f32_e32 v90, 0x3ed4b147, v131
	v_fmac_f32_e32 v91, 0x3ed4b147, v130
	v_fma_f32 v92, v131, s5, -v92
	v_fma_f32 v115, v130, s14, -v117
	v_fmac_f32_e32 v116, 0xbe11bafb, v131
	v_fmac_f32_e32 v117, 0xbe11bafb, v130
	v_fma_f32 v118, v131, s14, -v118
	s_movk_i32 s4, 0x3000
	v_add_f32_e32 v57, v57, v120
	v_add_f32_e32 v59, v59, v119
	;; [unrolled: 1-line block ×10, first 2 shown]
	ds_write2_b64 v93, v[48:49], v[50:51] offset1:176
	ds_write2_b64 v46, v[52:53], v[56:57] offset0:32 offset1:208
	ds_write2_b64 v47, v[89:90], v[115:116] offset0:64 offset1:240
	;; [unrolled: 1-line block ×3, first 2 shown]
	ds_write2_b64 v44, v[58:59], v[54:55] offset1:176
	ds_write_b64 v93, v[62:63] offset:14080
	v_add_co_u32_e32 v44, vcc, s4, v94
	v_addc_co_u32_e32 v45, vcc, 0, v124, vcc
	s_waitcnt lgkmcnt(0)
	s_barrier
	global_load_dwordx2 v[51:52], v[44:45], off offset:3200
	s_movk_i32 s5, 0x5000
	v_add_co_u32_e32 v47, vcc, s5, v94
	s_movk_i32 s4, 0x3c80
	v_addc_co_u32_e32 v48, vcc, 0, v124, vcc
	v_add_co_u32_e32 v44, vcc, s4, v94
	global_load_dwordx2 v[55:56], v[47:48], off offset:2752
	v_addc_co_u32_e32 v45, vcc, 0, v124, vcc
	global_load_dwordx2 v[57:58], v[44:45], off offset:1408
	s_movk_i32 s4, 0x6000
	v_add_co_u32_e32 v49, vcc, s4, v94
	v_addc_co_u32_e32 v50, vcc, 0, v124, vcc
	global_load_dwordx2 v[89:90], v[49:50], off offset:64
	global_load_dwordx2 v[91:92], v[47:48], off offset:640
	;; [unrolled: 1-line block ×4, first 2 shown]
	s_movk_i32 s4, 0x4000
	v_add_co_u32_e32 v47, vcc, s4, v94
	v_addc_co_u32_e32 v48, vcc, 0, v124, vcc
	global_load_dwordx2 v[119:120], v[47:48], off offset:3328
	global_load_dwordx2 v[121:122], v[49:50], off offset:2880
	v_add_co_u32_e32 v47, vcc, 0x7000, v94
	v_addc_co_u32_e32 v48, vcc, 0, v124, vcc
	global_load_dwordx2 v[123:124], v[47:48], off offset:192
	ds_read2_b64 v[47:50], v93 offset1:176
	s_waitcnt vmcnt(9) lgkmcnt(0)
	v_mul_f32_e32 v53, v48, v52
	v_mul_f32_e32 v54, v47, v52
	v_fma_f32 v53, v47, v51, -v53
	v_fmac_f32_e32 v54, v48, v51
	ds_write_b64 v93, v[53:54]
	v_add_u32_e32 v47, 0x1c00, v93
	ds_read2_b64 v[51:54], v47 offset0:72 offset1:248
	s_waitcnt vmcnt(8) lgkmcnt(0)
	v_mul_f32_e32 v48, v52, v56
	v_fma_f32 v125, v51, v55, -v48
	s_waitcnt vmcnt(7)
	v_mul_f32_e32 v48, v50, v58
	v_mul_f32_e32 v128, v49, v58
	;; [unrolled: 1-line block ×3, first 2 shown]
	v_fma_f32 v127, v49, v57, -v48
	v_fmac_f32_e32 v128, v50, v57
	ds_read2_b64 v[48:51], v46 offset0:32 offset1:208
	v_fmac_f32_e32 v126, v52, v55
	s_waitcnt vmcnt(6)
	v_mul_f32_e32 v52, v54, v90
	v_fma_f32 v52, v53, v89, -v52
	v_mul_f32_e32 v53, v53, v90
	v_fmac_f32_e32 v53, v54, v89
	ds_write2_b64 v47, v[125:126], v[52:53] offset0:72 offset1:248
	s_waitcnt vmcnt(4) lgkmcnt(1)
	v_mul_f32_e32 v52, v49, v116
	v_fma_f32 v57, v48, v115, -v52
	v_add_u32_e32 v52, 0x2800, v93
	ds_read2_b64 v[53:56], v52 offset0:40 offset1:216
	v_mul_f32_e32 v58, v48, v116
	v_fmac_f32_e32 v58, v49, v115
	v_add_u32_e32 v48, 0x400, v93
	ds_write2_b64 v48, v[127:128], v[57:58] offset0:48 offset1:224
	s_waitcnt vmcnt(3) lgkmcnt(1)
	v_mul_f32_e32 v48, v54, v118
	v_mul_f32_e32 v49, v53, v118
	v_fma_f32 v48, v53, v117, -v48
	v_fmac_f32_e32 v49, v54, v117
	s_waitcnt vmcnt(2)
	v_mul_f32_e32 v53, v51, v120
	v_mul_f32_e32 v54, v50, v120
	v_fma_f32 v53, v50, v119, -v53
	v_fmac_f32_e32 v54, v51, v119
	s_waitcnt vmcnt(1)
	v_mul_f32_e32 v50, v56, v122
	ds_read_b64 v[57:58], v93 offset:5632
	v_mul_f32_e32 v51, v55, v122
	v_fma_f32 v50, v55, v121, -v50
	v_fmac_f32_e32 v51, v56, v121
	ds_write2_b64 v52, v[48:49], v[50:51] offset0:40 offset1:216
	ds_read_b64 v[48:49], v93 offset:13376
	s_waitcnt lgkmcnt(2)
	v_mul_f32_e32 v50, v58, v92
	v_mul_f32_e32 v51, v57, v92
	v_fma_f32 v50, v57, v91, -v50
	v_fmac_f32_e32 v51, v58, v91
	v_add_u32_e32 v55, 0x1000, v93
	ds_write2_b64 v55, v[53:54], v[50:51] offset0:16 offset1:192
	s_waitcnt vmcnt(0) lgkmcnt(1)
	v_mul_f32_e32 v50, v49, v124
	v_mul_f32_e32 v51, v48, v124
	v_fma_f32 v50, v48, v123, -v50
	v_fmac_f32_e32 v51, v49, v123
	ds_write_b64 v93, v[50:51] offset:13376
	s_and_saveexec_b64 s[4:5], s[0:1]
	s_cbranch_execz .LBB0_17
; %bb.16:
	v_add_co_u32_e32 v48, vcc, 0x1000, v44
	v_addc_co_u32_e32 v49, vcc, 0, v45, vcc
	v_add_co_u32_e32 v44, vcc, 0x3000, v44
	global_load_dwordx2 v[48:49], v[48:49], off offset:2944
	v_addc_co_u32_e32 v45, vcc, 0, v45, vcc
	global_load_dwordx2 v[44:45], v[44:45], off offset:2496
	ds_read_b64 v[50:51], v93 offset:7040
	ds_read_b64 v[53:54], v93 offset:14784
	s_waitcnt vmcnt(1) lgkmcnt(1)
	v_mul_f32_e32 v55, v51, v49
	v_mul_f32_e32 v56, v50, v49
	v_fma_f32 v55, v50, v48, -v55
	v_fmac_f32_e32 v56, v51, v48
	s_waitcnt vmcnt(0) lgkmcnt(0)
	v_mul_f32_e32 v48, v54, v45
	v_mul_f32_e32 v49, v53, v45
	v_fma_f32 v48, v53, v44, -v48
	v_fmac_f32_e32 v49, v54, v44
	ds_write_b64 v93, v[55:56] offset:7040
	ds_write_b64 v93, v[48:49] offset:14784
.LBB0_17:
	s_or_b64 exec, exec, s[4:5]
	s_waitcnt lgkmcnt(0)
	s_barrier
	ds_read2_b64 v[48:51], v93 offset1:176
	ds_read2_b64 v[56:59], v47 offset0:72 offset1:248
	ds_read2_b64 v[44:47], v46 offset0:32 offset1:208
	;; [unrolled: 1-line block ×3, first 2 shown]
	ds_read_b64 v[89:90], v93 offset:5632
	ds_read_b64 v[91:92], v93 offset:13376
	v_lshlrev_b32_e32 v115, 3, v108
	v_lshlrev_b32_e32 v108, 3, v110
	s_and_saveexec_b64 s[4:5], s[0:1]
	s_cbranch_execz .LBB0_19
; %bb.18:
	ds_read_b64 v[62:63], v93 offset:7040
	ds_read_b64 v[60:61], v93 offset:14784
.LBB0_19:
	s_or_b64 exec, exec, s[4:5]
	s_waitcnt lgkmcnt(4)
	v_sub_f32_e32 v58, v50, v58
	v_sub_f32_e32 v59, v51, v59
	s_waitcnt lgkmcnt(2)
	v_sub_f32_e32 v54, v46, v54
	v_sub_f32_e32 v55, v47, v55
	;; [unrolled: 1-line block ×4, first 2 shown]
	v_fma_f32 v56, v50, 2.0, -v58
	v_fma_f32 v57, v51, 2.0, -v59
	v_sub_f32_e32 v50, v44, v52
	v_sub_f32_e32 v51, v45, v53
	v_fma_f32 v52, v46, 2.0, -v54
	v_fma_f32 v53, v47, 2.0, -v55
	s_waitcnt lgkmcnt(0)
	v_sub_f32_e32 v46, v62, v60
	v_sub_f32_e32 v47, v63, v61
	v_fma_f32 v116, v48, 2.0, -v118
	v_fma_f32 v117, v49, 2.0, -v119
	;; [unrolled: 1-line block ×4, first 2 shown]
	v_sub_f32_e32 v91, v89, v91
	v_sub_f32_e32 v92, v90, v92
	v_fma_f32 v44, v62, 2.0, -v46
	v_fma_f32 v45, v63, 2.0, -v47
	;; [unrolled: 1-line block ×4, first 2 shown]
	s_barrier
	ds_write_b128 v99, v[116:119]
	ds_write_b128 v100, v[56:59]
	;; [unrolled: 1-line block ×5, first 2 shown]
	s_and_saveexec_b64 s[4:5], s[0:1]
	s_cbranch_execz .LBB0_21
; %bb.20:
	ds_write_b128 v101, v[44:47]
.LBB0_21:
	s_or_b64 exec, exec, s[4:5]
	v_add_u32_e32 v52, 0x1c00, v93
	s_waitcnt lgkmcnt(0)
	s_barrier
	ds_read2_b64 v[60:63], v52 offset0:72 offset1:248
	v_add_u32_e32 v52, 0xa00, v93
	v_add_u32_e32 v56, 0x2800, v93
	ds_read2_b64 v[48:51], v93 offset1:176
	ds_read2_b64 v[52:55], v52 offset0:32 offset1:208
	ds_read2_b64 v[56:59], v56 offset0:40 offset1:216
	ds_read_b64 v[89:90], v93 offset:5632
	ds_read_b64 v[91:92], v93 offset:13376
	s_and_saveexec_b64 s[4:5], s[0:1]
	s_cbranch_execz .LBB0_23
; %bb.22:
	ds_read_b64 v[44:45], v93 offset:7040
	ds_read_b64 v[46:47], v93 offset:14784
.LBB0_23:
	s_or_b64 exec, exec, s[4:5]
	s_waitcnt lgkmcnt(5)
	v_mul_f32_e32 v99, v88, v61
	v_fmac_f32_e32 v99, v87, v60
	v_mul_f32_e32 v60, v88, v60
	v_fma_f32 v60, v87, v61, -v60
	v_mul_f32_e32 v61, v88, v63
	v_fmac_f32_e32 v61, v87, v62
	v_mul_f32_e32 v62, v88, v62
	v_fma_f32 v62, v87, v63, -v62
	s_waitcnt lgkmcnt(2)
	v_mul_f32_e32 v63, v88, v57
	v_fmac_f32_e32 v63, v87, v56
	v_mul_f32_e32 v56, v88, v56
	v_fma_f32 v100, v87, v57, -v56
	v_mul_f32_e32 v56, v88, v58
	s_waitcnt lgkmcnt(0)
	v_mul_f32_e32 v115, v88, v47
	v_fma_f32 v102, v87, v59, -v56
	v_mul_f32_e32 v108, v88, v92
	v_mul_f32_e32 v56, v88, v91
	v_fmac_f32_e32 v115, v87, v46
	v_mul_f32_e32 v46, v88, v46
	v_mul_f32_e32 v101, v88, v59
	v_fmac_f32_e32 v108, v87, v91
	v_fma_f32 v110, v87, v92, -v56
	v_fma_f32 v88, v87, v47, -v46
	v_fmac_f32_e32 v101, v87, v58
	v_sub_f32_e32 v46, v48, v99
	v_sub_f32_e32 v47, v49, v60
	;; [unrolled: 1-line block ×8, first 2 shown]
	v_fma_f32 v48, v48, 2.0, -v46
	v_fma_f32 v49, v49, 2.0, -v47
	v_sub_f32_e32 v56, v50, v61
	v_sub_f32_e32 v59, v53, v100
	;; [unrolled: 1-line block ×4, first 2 shown]
	v_fma_f32 v60, v89, 2.0, -v62
	v_fma_f32 v61, v90, 2.0, -v63
	;; [unrolled: 1-line block ×10, first 2 shown]
	s_barrier
	ds_write2_b64 v107, v[48:49], v[46:47] offset1:2
	ds_write2_b64 v106, v[50:51], v[56:57] offset1:2
	;; [unrolled: 1-line block ×5, first 2 shown]
	s_and_saveexec_b64 s[4:5], s[0:1]
	s_cbranch_execz .LBB0_25
; %bb.24:
	s_movk_i32 s6, 0x7fc
	v_and_or_b32 v44, v109, s6, v97
	v_lshlrev_b32_e32 v44, 3, v44
	ds_write2_b64 v44, v[89:90], v[87:88] offset1:2
.LBB0_25:
	s_or_b64 exec, exec, s[4:5]
	v_add_u32_e32 v48, 0xe00, v93
	s_waitcnt lgkmcnt(0)
	s_barrier
	ds_read2_b64 v[56:59], v48 offset0:36 offset1:212
	v_add_u32_e32 v48, 0x1c00, v93
	ds_read2_b64 v[52:55], v48 offset0:72 offset1:248
	v_add_u32_e32 v48, 0x2c00, v93
	ds_read2_b64 v[44:47], v93 offset1:176
	ds_read2_b64 v[48:51], v48 offset0:44 offset1:220
	s_and_saveexec_b64 s[4:5], s[2:3]
	s_cbranch_execz .LBB0_27
; %bb.26:
	ds_read_b64 v[60:61], v93 offset:2816
	ds_read_b64 v[62:63], v93 offset:6688
	;; [unrolled: 1-line block ×4, first 2 shown]
.LBB0_27:
	s_or_b64 exec, exec, s[4:5]
	s_waitcnt lgkmcnt(3)
	v_mul_f32_e32 v91, v1, v57
	v_fmac_f32_e32 v91, v0, v56
	v_mul_f32_e32 v56, v1, v56
	v_fma_f32 v56, v0, v57, -v56
	s_waitcnt lgkmcnt(2)
	v_mul_f32_e32 v57, v3, v53
	v_fmac_f32_e32 v57, v2, v52
	v_mul_f32_e32 v52, v3, v52
	v_fma_f32 v52, v2, v53, -v52
	;; [unrolled: 5-line block ×3, first 2 shown]
	v_mul_f32_e32 v92, v1, v59
	v_mul_f32_e32 v49, v1, v58
	v_fmac_f32_e32 v92, v0, v58
	v_fma_f32 v58, v0, v59, -v49
	v_mul_f32_e32 v59, v3, v55
	v_mul_f32_e32 v49, v3, v54
	v_fmac_f32_e32 v59, v2, v54
	v_fma_f32 v54, v2, v55, -v49
	v_mul_f32_e32 v49, v86, v50
	v_mul_f32_e32 v55, v86, v51
	v_fma_f32 v97, v85, v51, -v49
	v_sub_f32_e32 v57, v44, v57
	v_sub_f32_e32 v99, v45, v52
	;; [unrolled: 1-line block ×4, first 2 shown]
	v_fmac_f32_e32 v55, v85, v50
	v_fma_f32 v49, v44, 2.0, -v57
	v_fma_f32 v50, v45, 2.0, -v99
	;; [unrolled: 1-line block ×4, first 2 shown]
	v_sub_f32_e32 v44, v49, v44
	v_sub_f32_e32 v45, v50, v45
	v_fma_f32 v48, v49, 2.0, -v44
	v_fma_f32 v49, v50, 2.0, -v45
	v_add_f32_e32 v50, v57, v52
	v_sub_f32_e32 v91, v47, v54
	v_sub_f32_e32 v97, v58, v97
	v_fma_f32 v52, v57, 2.0, -v50
	v_sub_f32_e32 v59, v46, v59
	v_fma_f32 v56, v47, 2.0, -v91
	;; [unrolled: 2-line block ×4, first 2 shown]
	v_fma_f32 v46, v92, 2.0, -v57
	v_sub_f32_e32 v47, v56, v47
	v_fma_f32 v53, v99, 2.0, -v51
	v_sub_f32_e32 v46, v54, v46
	v_fma_f32 v55, v56, 2.0, -v47
	v_add_f32_e32 v56, v59, v97
	v_sub_f32_e32 v57, v91, v57
	v_fma_f32 v54, v54, 2.0, -v46
	v_fma_f32 v58, v59, 2.0, -v56
	v_fma_f32 v59, v91, 2.0, -v57
	s_barrier
	ds_write2_b64 v111, v[48:49], v[52:53] offset1:4
	ds_write2_b64 v111, v[44:45], v[50:51] offset0:8 offset1:12
	ds_write2_b64 v112, v[54:55], v[58:59] offset1:4
	ds_write2_b64 v112, v[46:47], v[56:57] offset0:8 offset1:12
	s_and_saveexec_b64 s[4:5], s[2:3]
	s_cbranch_execz .LBB0_29
; %bb.28:
	v_mul_f32_e32 v44, v3, v89
	v_mul_f32_e32 v49, v1, v63
	;; [unrolled: 1-line block ×3, first 2 shown]
	v_fma_f32 v44, v2, v90, -v44
	v_fmac_f32_e32 v49, v0, v62
	v_mul_f32_e32 v3, v3, v90
	v_fma_f32 v0, v0, v63, -v1
	v_mul_f32_e32 v1, v86, v87
	v_sub_f32_e32 v48, v61, v44
	v_mul_f32_e32 v44, v86, v88
	v_fmac_f32_e32 v3, v2, v89
	v_fma_f32 v1, v85, v88, -v1
	v_fmac_f32_e32 v44, v85, v87
	v_sub_f32_e32 v2, v60, v3
	v_sub_f32_e32 v1, v0, v1
	;; [unrolled: 1-line block ×3, first 2 shown]
	v_add_f32_e32 v44, v2, v1
	v_fma_f32 v3, v61, 2.0, -v48
	v_fma_f32 v0, v0, 2.0, -v1
	v_sub_f32_e32 v45, v48, v50
	v_fma_f32 v46, v2, 2.0, -v44
	v_sub_f32_e32 v1, v3, v0
	v_fma_f32 v2, v60, 2.0, -v2
	v_fma_f32 v0, v49, 2.0, -v50
	s_movk_i32 s2, 0xff0
	v_fma_f32 v47, v48, 2.0, -v45
	v_sub_f32_e32 v0, v2, v0
	v_and_or_b32 v48, v113, s2, v98
	v_fma_f32 v3, v3, 2.0, -v1
	v_fma_f32 v2, v2, 2.0, -v0
	v_lshlrev_b32_e32 v48, 3, v48
	ds_write2_b64 v48, v[2:3], v[46:47] offset1:4
	ds_write2_b64 v48, v[0:1], v[44:45] offset0:8 offset1:12
.LBB0_29:
	s_or_b64 exec, exec, s[4:5]
	s_waitcnt lgkmcnt(0)
	s_barrier
	ds_read2_b64 v[44:47], v93 offset1:176
	v_add_u32_e32 v0, 0xa00, v93
	ds_read2_b64 v[48:51], v0 offset0:32 offset1:208
	v_add_u32_e32 v3, 0x1400, v93
	ds_read2_b64 v[52:55], v3 offset0:64 offset1:240
	;; [unrolled: 2-line block ×3, first 2 shown]
	s_waitcnt lgkmcnt(3)
	v_mul_f32_e32 v87, v17, v47
	v_mul_f32_e32 v17, v17, v46
	v_fmac_f32_e32 v87, v16, v46
	v_fma_f32 v16, v16, v47, -v17
	s_waitcnt lgkmcnt(2)
	v_mul_f32_e32 v17, v19, v49
	v_mul_f32_e32 v19, v19, v48
	v_add_u32_e32 v1, 0x2c00, v93
	v_fmac_f32_e32 v17, v18, v48
	v_fma_f32 v18, v18, v49, -v19
	v_mul_f32_e32 v19, v13, v51
	v_mul_f32_e32 v13, v13, v50
	ds_read2_b64 v[60:63], v1 offset1:176
	ds_read_b64 v[85:86], v93 offset:14080
	v_fmac_f32_e32 v19, v12, v50
	v_fma_f32 v12, v12, v51, -v13
	s_waitcnt lgkmcnt(3)
	v_mul_f32_e32 v13, v15, v53
	v_mul_f32_e32 v15, v15, v52
	v_fmac_f32_e32 v13, v14, v52
	v_fma_f32 v14, v14, v53, -v15
	v_mul_f32_e32 v15, v9, v55
	v_mul_f32_e32 v9, v9, v54
	v_fmac_f32_e32 v15, v8, v54
	v_fma_f32 v8, v8, v55, -v9
	s_waitcnt lgkmcnt(2)
	v_mul_f32_e32 v9, v11, v57
	v_mul_f32_e32 v11, v11, v56
	v_fmac_f32_e32 v9, v10, v56
	v_fma_f32 v10, v10, v57, -v11
	v_mul_f32_e32 v11, v5, v59
	v_mul_f32_e32 v5, v5, v58
	;; [unrolled: 9-line block ×3, first 2 shown]
	v_add_f32_e32 v5, v45, v16
	v_fmac_f32_e32 v7, v20, v62
	v_fma_f32 v20, v20, v63, -v4
	s_waitcnt lgkmcnt(0)
	v_mul_f32_e32 v21, v23, v86
	v_mul_f32_e32 v4, v23, v85
	v_add_f32_e32 v5, v5, v18
	v_fmac_f32_e32 v21, v22, v85
	v_fma_f32 v22, v22, v86, -v4
	v_add_f32_e32 v4, v44, v87
	v_add_f32_e32 v5, v5, v12
	;; [unrolled: 1-line block ×15, first 2 shown]
	v_sub_f32_e32 v16, v16, v22
	v_add_f32_e32 v4, v4, v47
	v_add_f32_e32 v5, v5, v22
	v_mul_f32_e32 v22, 0xbf0a6770, v16
	v_mul_f32_e32 v52, 0xbf68dda4, v16
	;; [unrolled: 1-line block ×5, first 2 shown]
	v_add_f32_e32 v4, v4, v7
	v_add_f32_e32 v23, v87, v21
	s_mov_b32 s4, 0x3f575c64
	v_mov_b32_e32 v49, v22
	v_mul_f32_e32 v50, 0x3f575c64, v48
	s_mov_b32 s2, 0x3ed4b147
	v_mov_b32_e32 v53, v52
	v_mul_f32_e32 v54, 0x3ed4b147, v48
	;; [unrolled: 3-line block ×5, first 2 shown]
	v_add_f32_e32 v4, v4, v21
	v_sub_f32_e32 v21, v87, v21
	v_fmac_f32_e32 v49, 0x3f575c64, v23
	v_mov_b32_e32 v51, v50
	v_fma_f32 v22, v23, s4, -v22
	v_fmac_f32_e32 v53, 0x3ed4b147, v23
	v_mov_b32_e32 v55, v54
	v_fma_f32 v52, v23, s2, -v52
	v_fmac_f32_e32 v57, 0xbe11bafb, v23
	v_mov_b32_e32 v59, v58
	v_fma_f32 v56, v23, s3, -v56
	v_fmac_f32_e32 v61, 0xbf27a4f4, v23
	v_mov_b32_e32 v63, v62
	v_fma_f32 v60, v23, s5, -v60
	v_fmac_f32_e32 v85, 0xbf75a155, v23
	v_mov_b32_e32 v86, v48
	v_fma_f32 v16, v23, s6, -v16
	v_add_f32_e32 v49, v44, v49
	v_fmac_f32_e32 v51, 0x3f0a6770, v21
	v_add_f32_e32 v22, v44, v22
	v_fmac_f32_e32 v50, 0xbf0a6770, v21
	;; [unrolled: 2-line block ×10, first 2 shown]
	v_add_f32_e32 v23, v17, v7
	v_add_f32_e32 v44, v18, v20
	v_sub_f32_e32 v7, v17, v7
	v_sub_f32_e32 v17, v18, v20
	v_add_f32_e32 v51, v45, v51
	v_add_f32_e32 v50, v45, v50
	;; [unrolled: 1-line block ×10, first 2 shown]
	v_mul_f32_e32 v18, 0xbf68dda4, v17
	v_mul_f32_e32 v45, 0x3ed4b147, v44
	v_mov_b32_e32 v20, v18
	v_mov_b32_e32 v48, v45
	v_fma_f32 v18, v23, s2, -v18
	v_fmac_f32_e32 v45, 0xbf68dda4, v7
	v_fmac_f32_e32 v20, 0x3ed4b147, v23
	v_add_f32_e32 v18, v18, v22
	v_add_f32_e32 v22, v45, v50
	v_mul_f32_e32 v45, 0xbf4178ce, v17
	v_add_f32_e32 v20, v20, v49
	v_mov_b32_e32 v49, v45
	v_fma_f32 v45, v23, s5, -v45
	v_fmac_f32_e32 v48, 0x3f68dda4, v7
	v_fmac_f32_e32 v49, 0xbf27a4f4, v23
	v_mul_f32_e32 v50, 0xbf27a4f4, v44
	v_add_f32_e32 v45, v45, v52
	v_mul_f32_e32 v52, 0x3e903f40, v17
	v_add_f32_e32 v48, v48, v51
	v_add_f32_e32 v49, v49, v53
	v_mov_b32_e32 v51, v50
	v_fmac_f32_e32 v50, 0xbf4178ce, v7
	v_mov_b32_e32 v53, v52
	v_fma_f32 v52, v23, s6, -v52
	v_fmac_f32_e32 v51, 0x3f4178ce, v7
	v_add_f32_e32 v50, v50, v54
	v_fmac_f32_e32 v53, 0xbf75a155, v23
	v_mul_f32_e32 v54, 0xbf75a155, v44
	v_add_f32_e32 v52, v52, v56
	v_mul_f32_e32 v56, 0x3f7d64f0, v17
	v_add_f32_e32 v51, v51, v55
	v_add_f32_e32 v53, v53, v57
	v_mov_b32_e32 v55, v54
	v_fmac_f32_e32 v54, 0x3e903f40, v7
	v_mov_b32_e32 v57, v56
	v_fmac_f32_e32 v55, 0xbe903f40, v7
	v_add_f32_e32 v54, v54, v58
	v_fmac_f32_e32 v57, 0xbe11bafb, v23
	v_mul_f32_e32 v58, 0xbe11bafb, v44
	v_mul_f32_e32 v44, 0x3f575c64, v44
	v_add_f32_e32 v55, v55, v59
	v_add_f32_e32 v57, v57, v61
	v_mov_b32_e32 v59, v58
	v_mov_b32_e32 v61, v44
	v_fmac_f32_e32 v44, 0x3f0a6770, v7
	v_fmac_f32_e32 v59, 0xbf7d64f0, v7
	v_fma_f32 v56, v23, s3, -v56
	v_fmac_f32_e32 v58, 0x3f7d64f0, v7
	v_mul_f32_e32 v17, 0x3f0a6770, v17
	v_fmac_f32_e32 v61, 0xbf0a6770, v7
	v_add_f32_e32 v7, v44, v21
	v_add_f32_e32 v21, v12, v6
	v_sub_f32_e32 v6, v12, v6
	v_add_f32_e32 v56, v56, v60
	v_mov_b32_e32 v60, v17
	v_fma_f32 v17, v23, s4, -v17
	v_mul_f32_e32 v12, 0xbf7d64f0, v6
	v_fmac_f32_e32 v60, 0x3f575c64, v23
	v_add_f32_e32 v16, v17, v16
	v_add_f32_e32 v17, v19, v47
	v_mov_b32_e32 v23, v12
	v_fmac_f32_e32 v23, 0xbe11bafb, v17
	v_sub_f32_e32 v19, v19, v47
	v_add_f32_e32 v20, v23, v20
	v_mul_f32_e32 v23, 0xbe11bafb, v21
	v_mov_b32_e32 v44, v23
	v_fma_f32 v12, v17, s3, -v12
	v_fmac_f32_e32 v23, 0xbf7d64f0, v19
	v_fmac_f32_e32 v44, 0x3f7d64f0, v19
	v_add_f32_e32 v12, v12, v18
	v_add_f32_e32 v18, v23, v22
	v_mul_f32_e32 v22, 0x3e903f40, v6
	v_mul_f32_e32 v47, 0xbf75a155, v21
	v_add_f32_e32 v44, v44, v48
	v_mov_b32_e32 v23, v22
	v_mov_b32_e32 v48, v47
	v_fma_f32 v22, v17, s6, -v22
	v_fmac_f32_e32 v47, 0x3e903f40, v19
	v_fmac_f32_e32 v23, 0xbf75a155, v17
	v_add_f32_e32 v22, v22, v45
	v_add_f32_e32 v45, v47, v50
	v_mul_f32_e32 v47, 0x3f68dda4, v6
	v_add_f32_e32 v23, v23, v49
	v_mov_b32_e32 v49, v47
	v_fma_f32 v47, v17, s2, -v47
	v_fmac_f32_e32 v49, 0x3ed4b147, v17
	v_add_f32_e32 v47, v47, v52
	v_mul_f32_e32 v52, 0xbf0a6770, v6
	v_fmac_f32_e32 v48, 0xbe903f40, v19
	v_add_f32_e32 v49, v49, v53
	v_mul_f32_e32 v50, 0x3ed4b147, v21
	v_mov_b32_e32 v53, v52
	v_fma_f32 v52, v17, s4, -v52
	v_mul_f32_e32 v6, 0xbf4178ce, v6
	v_add_f32_e32 v48, v48, v51
	v_mov_b32_e32 v51, v50
	v_fmac_f32_e32 v50, 0x3f68dda4, v19
	v_add_f32_e32 v52, v52, v56
	v_mov_b32_e32 v56, v6
	v_fma_f32 v6, v17, s5, -v6
	v_fmac_f32_e32 v51, 0xbf68dda4, v19
	v_add_f32_e32 v50, v50, v54
	v_fmac_f32_e32 v53, 0x3f575c64, v17
	v_mul_f32_e32 v54, 0x3f575c64, v21
	v_mul_f32_e32 v21, 0xbf27a4f4, v21
	v_add_f32_e32 v6, v6, v16
	v_add_f32_e32 v16, v13, v11
	v_sub_f32_e32 v11, v13, v11
	v_sub_f32_e32 v13, v14, v46
	v_add_f32_e32 v51, v51, v55
	v_add_f32_e32 v53, v53, v57
	v_mov_b32_e32 v55, v54
	v_fmac_f32_e32 v56, 0xbf27a4f4, v17
	v_mov_b32_e32 v57, v21
	v_add_f32_e32 v17, v14, v46
	v_mul_f32_e32 v14, 0xbf4178ce, v13
	v_fmac_f32_e32 v55, 0x3f0a6770, v19
	v_fmac_f32_e32 v54, 0xbf0a6770, v19
	;; [unrolled: 1-line block ×4, first 2 shown]
	v_mov_b32_e32 v19, v14
	v_fmac_f32_e32 v19, 0xbf27a4f4, v16
	v_add_f32_e32 v19, v19, v20
	v_mul_f32_e32 v20, 0xbf27a4f4, v17
	v_add_f32_e32 v7, v21, v7
	v_mov_b32_e32 v21, v20
	v_fma_f32 v14, v16, s5, -v14
	v_fmac_f32_e32 v20, 0xbf4178ce, v11
	v_add_f32_e32 v12, v14, v12
	v_add_f32_e32 v14, v20, v18
	v_mul_f32_e32 v18, 0x3f7d64f0, v13
	v_mov_b32_e32 v20, v18
	v_fmac_f32_e32 v20, 0xbe11bafb, v16
	v_fmac_f32_e32 v21, 0x3f4178ce, v11
	v_add_f32_e32 v20, v20, v23
	v_mul_f32_e32 v23, 0xbe11bafb, v17
	v_add_f32_e32 v21, v21, v44
	v_mov_b32_e32 v44, v23
	v_fma_f32 v18, v16, s3, -v18
	v_fmac_f32_e32 v23, 0x3f7d64f0, v11
	v_add_f32_e32 v18, v18, v22
	v_add_f32_e32 v22, v23, v45
	v_mul_f32_e32 v23, 0xbf0a6770, v13
	v_mov_b32_e32 v45, v23
	v_fma_f32 v23, v16, s4, -v23
	v_fmac_f32_e32 v44, 0xbf7d64f0, v11
	v_fmac_f32_e32 v45, 0x3f575c64, v16
	v_mul_f32_e32 v46, 0x3f575c64, v17
	v_add_f32_e32 v23, v23, v47
	v_mul_f32_e32 v47, 0xbe903f40, v13
	v_add_f32_e32 v44, v44, v48
	v_add_f32_e32 v45, v45, v49
	v_mov_b32_e32 v48, v46
	v_fmac_f32_e32 v46, 0xbf0a6770, v11
	v_mov_b32_e32 v49, v47
	v_add_f32_e32 v46, v46, v50
	v_fmac_f32_e32 v49, 0xbf75a155, v16
	v_mul_f32_e32 v50, 0xbf75a155, v17
	v_fma_f32 v47, v16, s6, -v47
	v_mul_f32_e32 v13, 0x3f68dda4, v13
	v_mul_f32_e32 v17, 0x3ed4b147, v17
	v_add_f32_e32 v59, v59, v63
	v_add_f32_e32 v60, v60, v85
	v_add_f32_e32 v61, v61, v86
	v_add_f32_e32 v49, v49, v53
	v_add_f32_e32 v47, v47, v52
	v_mov_b32_e32 v52, v13
	v_mov_b32_e32 v53, v17
	v_add_f32_e32 v58, v58, v62
	v_add_f32_e32 v55, v55, v59
	;; [unrolled: 1-line block ×4, first 2 shown]
	v_fmac_f32_e32 v48, 0x3f0a6770, v11
	v_fmac_f32_e32 v52, 0x3ed4b147, v16
	;; [unrolled: 1-line block ×3, first 2 shown]
	v_sub_f32_e32 v59, v8, v10
	v_add_f32_e32 v54, v54, v58
	v_add_f32_e32 v48, v48, v51
	v_mov_b32_e32 v51, v50
	v_fmac_f32_e32 v50, 0xbe903f40, v11
	v_add_f32_e32 v52, v52, v56
	v_add_f32_e32 v53, v53, v57
	v_fma_f32 v13, v16, s2, -v13
	v_add_f32_e32 v56, v15, v9
	v_add_f32_e32 v57, v8, v10
	v_mul_f32_e32 v8, 0xbe903f40, v59
	v_fmac_f32_e32 v51, 0x3e903f40, v11
	v_add_f32_e32 v50, v50, v54
	v_add_f32_e32 v54, v13, v6
	v_fmac_f32_e32 v17, 0x3f68dda4, v11
	v_sub_f32_e32 v58, v15, v9
	v_mov_b32_e32 v6, v8
	v_mul_f32_e32 v9, 0xbf75a155, v57
	v_fma_f32 v8, v56, s6, -v8
	v_add_f32_e32 v51, v51, v55
	v_add_f32_e32 v55, v17, v7
	v_mov_b32_e32 v7, v9
	v_add_f32_e32 v8, v8, v12
	v_fmac_f32_e32 v9, 0xbe903f40, v58
	v_mul_f32_e32 v12, 0x3f0a6770, v59
	v_mul_f32_e32 v13, 0x3f575c64, v57
	;; [unrolled: 1-line block ×3, first 2 shown]
	v_add_f32_e32 v9, v9, v14
	v_mov_b32_e32 v10, v12
	v_mov_b32_e32 v11, v13
	;; [unrolled: 1-line block ×3, first 2 shown]
	v_fmac_f32_e32 v7, 0x3e903f40, v58
	v_fmac_f32_e32 v10, 0x3f575c64, v56
	;; [unrolled: 1-line block ×5, first 2 shown]
	v_add_f32_e32 v7, v7, v21
	v_add_f32_e32 v10, v10, v20
	;; [unrolled: 1-line block ×3, first 2 shown]
	v_fma_f32 v12, v56, s4, -v12
	v_fmac_f32_e32 v13, 0x3f0a6770, v58
	v_add_f32_e32 v14, v14, v45
	v_mul_f32_e32 v17, 0xbf27a4f4, v57
	v_fma_f32 v16, v56, s5, -v16
	v_mul_f32_e32 v20, 0x3f68dda4, v59
	v_mul_f32_e32 v21, 0x3ed4b147, v57
	;; [unrolled: 1-line block ×4, first 2 shown]
	v_add_f32_e32 v6, v6, v19
	v_add_f32_e32 v12, v12, v18
	;; [unrolled: 1-line block ×3, first 2 shown]
	v_mov_b32_e32 v15, v17
	v_add_f32_e32 v16, v16, v23
	v_mov_b32_e32 v18, v20
	v_mov_b32_e32 v19, v21
	;; [unrolled: 1-line block ×4, first 2 shown]
	v_fmac_f32_e32 v15, 0x3f4178ce, v58
	v_fmac_f32_e32 v17, 0xbf4178ce, v58
	;; [unrolled: 1-line block ×4, first 2 shown]
	v_fma_f32 v20, v56, s2, -v20
	v_fmac_f32_e32 v21, 0x3f68dda4, v58
	v_fmac_f32_e32 v22, 0xbe11bafb, v56
	;; [unrolled: 1-line block ×3, first 2 shown]
	v_fma_f32 v44, v56, s3, -v44
	v_fmac_f32_e32 v45, 0xbf7d64f0, v58
	v_add_f32_e32 v15, v15, v48
	v_add_f32_e32 v17, v17, v46
	;; [unrolled: 1-line block ×10, first 2 shown]
	s_barrier
	ds_write2_b64 v114, v[4:5], v[6:7] offset1:16
	ds_write2_b64 v114, v[10:11], v[14:15] offset0:32 offset1:48
	ds_write2_b64 v114, v[18:19], v[22:23] offset0:64 offset1:80
	;; [unrolled: 1-line block ×4, first 2 shown]
	ds_write_b64 v114, v[8:9] offset:1280
	s_waitcnt lgkmcnt(0)
	s_barrier
	ds_read2_b64 v[4:7], v93 offset1:176
	ds_read2_b64 v[8:11], v0 offset0:32 offset1:208
	ds_read2_b64 v[12:15], v3 offset0:64 offset1:240
	ds_read2_b64 v[16:19], v2 offset0:32 offset1:208
	ds_read2_b64 v[20:23], v1 offset1:176
	ds_read_b64 v[44:45], v93 offset:14080
	s_waitcnt lgkmcnt(5)
	v_mul_f32_e32 v46, v37, v7
	v_fmac_f32_e32 v46, v36, v6
	v_mul_f32_e32 v6, v37, v6
	v_fma_f32 v36, v36, v7, -v6
	s_waitcnt lgkmcnt(4)
	v_mul_f32_e32 v37, v39, v9
	v_mul_f32_e32 v6, v39, v8
	v_fmac_f32_e32 v37, v38, v8
	v_fma_f32 v8, v38, v9, -v6
	v_mul_f32_e32 v9, v33, v11
	v_mul_f32_e32 v6, v33, v10
	v_fmac_f32_e32 v9, v32, v10
	v_fma_f32 v10, v32, v11, -v6
	s_waitcnt lgkmcnt(3)
	v_mul_f32_e32 v11, v35, v13
	v_mul_f32_e32 v6, v35, v12
	v_fmac_f32_e32 v11, v34, v12
	v_fma_f32 v12, v34, v13, -v6
	v_mul_f32_e32 v13, v29, v15
	v_mul_f32_e32 v6, v29, v14
	v_fmac_f32_e32 v13, v28, v14
	v_fma_f32 v14, v28, v15, -v6
	s_waitcnt lgkmcnt(2)
	v_mul_f32_e32 v15, v31, v17
	v_mul_f32_e32 v6, v31, v16
	v_add_f32_e32 v7, v5, v36
	v_fmac_f32_e32 v15, v30, v16
	v_fma_f32 v16, v30, v17, -v6
	v_mul_f32_e32 v17, v25, v19
	v_mul_f32_e32 v6, v25, v18
	v_add_f32_e32 v7, v7, v8
	v_fmac_f32_e32 v17, v24, v18
	v_fma_f32 v18, v24, v19, -v6
	s_waitcnt lgkmcnt(1)
	v_mul_f32_e32 v19, v27, v21
	v_mul_f32_e32 v6, v27, v20
	v_add_f32_e32 v7, v7, v10
	v_fmac_f32_e32 v19, v26, v20
	v_fma_f32 v20, v26, v21, -v6
	v_mul_f32_e32 v21, v41, v23
	v_mul_f32_e32 v6, v41, v22
	v_add_f32_e32 v7, v7, v12
	v_fmac_f32_e32 v21, v40, v22
	v_fma_f32 v22, v40, v23, -v6
	s_waitcnt lgkmcnt(0)
	v_mul_f32_e32 v6, v43, v44
	v_add_f32_e32 v7, v7, v14
	v_fma_f32 v24, v42, v45, -v6
	v_add_f32_e32 v6, v4, v46
	v_add_f32_e32 v7, v7, v16
	;; [unrolled: 1-line block ×8, first 2 shown]
	v_mul_f32_e32 v23, v43, v45
	v_add_f32_e32 v6, v6, v13
	v_add_f32_e32 v7, v7, v24
	;; [unrolled: 1-line block ×3, first 2 shown]
	v_sub_f32_e32 v24, v36, v24
	v_fmac_f32_e32 v23, v42, v44
	v_add_f32_e32 v6, v6, v15
	v_mul_f32_e32 v27, 0xbf0a6770, v24
	v_mul_f32_e32 v31, 0xbf68dda4, v24
	;; [unrolled: 1-line block ×5, first 2 shown]
	v_add_f32_e32 v6, v6, v17
	v_add_f32_e32 v25, v46, v23
	v_mov_b32_e32 v28, v27
	v_mov_b32_e32 v32, v31
	;; [unrolled: 1-line block ×5, first 2 shown]
	v_add_f32_e32 v6, v6, v19
	v_fmac_f32_e32 v28, 0x3f575c64, v25
	v_fma_f32 v27, v25, s4, -v27
	v_fmac_f32_e32 v32, 0x3ed4b147, v25
	v_fma_f32 v31, v25, s2, -v31
	;; [unrolled: 2-line block ×5, first 2 shown]
	v_add_f32_e32 v6, v6, v21
	v_add_f32_e32 v28, v4, v28
	v_mul_f32_e32 v29, 0x3f575c64, v26
	v_add_f32_e32 v27, v4, v27
	v_add_f32_e32 v32, v4, v32
	v_mul_f32_e32 v33, 0x3ed4b147, v26
	;; [unrolled: 3-line block ×5, first 2 shown]
	v_add_f32_e32 v4, v4, v24
	v_add_f32_e32 v24, v8, v22
	v_sub_f32_e32 v8, v8, v22
	v_add_f32_e32 v6, v6, v23
	v_sub_f32_e32 v23, v46, v23
	v_mov_b32_e32 v30, v29
	v_mov_b32_e32 v34, v33
	v_mov_b32_e32 v39, v38
	v_mov_b32_e32 v43, v42
	v_mov_b32_e32 v45, v26
	v_mul_f32_e32 v22, 0xbf68dda4, v8
	v_fmac_f32_e32 v30, 0x3f0a6770, v23
	v_fmac_f32_e32 v29, 0xbf0a6770, v23
	;; [unrolled: 1-line block ×10, first 2 shown]
	v_add_f32_e32 v23, v37, v21
	v_mov_b32_e32 v25, v22
	v_add_f32_e32 v30, v5, v30
	v_add_f32_e32 v29, v5, v29
	;; [unrolled: 1-line block ×10, first 2 shown]
	v_sub_f32_e32 v21, v37, v21
	v_fmac_f32_e32 v25, 0x3ed4b147, v23
	v_mul_f32_e32 v26, 0x3ed4b147, v24
	v_fma_f32 v22, v23, s2, -v22
	v_add_f32_e32 v25, v25, v28
	v_mov_b32_e32 v28, v26
	v_add_f32_e32 v22, v22, v27
	v_fmac_f32_e32 v26, 0xbf68dda4, v21
	v_mul_f32_e32 v27, 0xbf4178ce, v8
	v_fmac_f32_e32 v28, 0x3f68dda4, v21
	v_add_f32_e32 v26, v26, v29
	v_mov_b32_e32 v29, v27
	v_add_f32_e32 v28, v28, v30
	v_fmac_f32_e32 v29, 0xbf27a4f4, v23
	v_mul_f32_e32 v30, 0xbf27a4f4, v24
	v_fma_f32 v27, v23, s5, -v27
	v_add_f32_e32 v29, v29, v32
	v_mov_b32_e32 v32, v30
	v_add_f32_e32 v27, v27, v31
	v_fmac_f32_e32 v30, 0xbf4178ce, v21
	v_mul_f32_e32 v31, 0x3e903f40, v8
	v_fmac_f32_e32 v32, 0x3f4178ce, v21
	v_add_f32_e32 v30, v30, v33
	v_mov_b32_e32 v33, v31
	v_fma_f32 v31, v23, s6, -v31
	v_add_f32_e32 v32, v32, v34
	v_fmac_f32_e32 v33, 0xbf75a155, v23
	v_mul_f32_e32 v34, 0xbf75a155, v24
	v_add_f32_e32 v31, v31, v35
	v_mul_f32_e32 v35, 0x3f7d64f0, v8
	v_add_f32_e32 v33, v33, v36
	v_mov_b32_e32 v36, v34
	v_fmac_f32_e32 v34, 0x3e903f40, v21
	v_mov_b32_e32 v37, v35
	v_fmac_f32_e32 v36, 0xbe903f40, v21
	v_add_f32_e32 v34, v34, v38
	v_fmac_f32_e32 v37, 0xbe11bafb, v23
	v_mul_f32_e32 v38, 0xbe11bafb, v24
	v_mul_f32_e32 v24, 0x3f575c64, v24
	v_add_f32_e32 v36, v36, v39
	v_add_f32_e32 v37, v37, v41
	v_mov_b32_e32 v39, v38
	v_fma_f32 v35, v23, s3, -v35
	v_mul_f32_e32 v8, 0x3f0a6770, v8
	v_mov_b32_e32 v41, v24
	v_fmac_f32_e32 v39, 0xbf7d64f0, v21
	v_add_f32_e32 v35, v35, v40
	v_fmac_f32_e32 v38, 0x3f7d64f0, v21
	v_mov_b32_e32 v40, v8
	v_fmac_f32_e32 v41, 0xbf0a6770, v21
	v_fma_f32 v8, v23, s4, -v8
	v_fmac_f32_e32 v24, 0x3f0a6770, v21
	v_add_f32_e32 v21, v10, v20
	v_sub_f32_e32 v10, v10, v20
	v_fmac_f32_e32 v40, 0x3f575c64, v23
	v_add_f32_e32 v4, v8, v4
	v_add_f32_e32 v8, v9, v19
	v_sub_f32_e32 v9, v9, v19
	v_mul_f32_e32 v19, 0xbf7d64f0, v10
	v_mul_f32_e32 v23, 0xbe11bafb, v21
	v_add_f32_e32 v5, v24, v5
	v_mov_b32_e32 v20, v19
	v_mov_b32_e32 v24, v23
	v_fma_f32 v19, v8, s3, -v19
	v_fmac_f32_e32 v23, 0xbf7d64f0, v9
	v_fmac_f32_e32 v20, 0xbe11bafb, v8
	v_add_f32_e32 v19, v19, v22
	v_add_f32_e32 v22, v23, v26
	v_mul_f32_e32 v23, 0x3e903f40, v10
	v_add_f32_e32 v20, v20, v25
	v_mov_b32_e32 v25, v23
	v_fma_f32 v23, v8, s6, -v23
	v_fmac_f32_e32 v25, 0xbf75a155, v8
	v_add_f32_e32 v23, v23, v27
	v_mul_f32_e32 v27, 0x3f68dda4, v10
	v_fmac_f32_e32 v24, 0x3f7d64f0, v9
	v_add_f32_e32 v25, v25, v29
	v_mul_f32_e32 v26, 0xbf75a155, v21
	v_mov_b32_e32 v29, v27
	v_fma_f32 v27, v8, s2, -v27
	v_add_f32_e32 v24, v24, v28
	v_mov_b32_e32 v28, v26
	v_fmac_f32_e32 v26, 0x3e903f40, v9
	v_fmac_f32_e32 v29, 0x3ed4b147, v8
	v_add_f32_e32 v27, v27, v31
	v_mul_f32_e32 v31, 0xbf0a6770, v10
	v_fmac_f32_e32 v28, 0xbe903f40, v9
	v_add_f32_e32 v26, v26, v30
	v_add_f32_e32 v29, v29, v33
	v_mul_f32_e32 v30, 0x3ed4b147, v21
	v_mov_b32_e32 v33, v31
	v_fma_f32 v31, v8, s4, -v31
	v_mul_f32_e32 v10, 0xbf4178ce, v10
	v_add_f32_e32 v28, v28, v32
	v_mov_b32_e32 v32, v30
	v_fmac_f32_e32 v30, 0x3f68dda4, v9
	v_add_f32_e32 v31, v31, v35
	v_mov_b32_e32 v35, v10
	v_fmac_f32_e32 v32, 0xbf68dda4, v9
	v_add_f32_e32 v30, v30, v34
	v_fmac_f32_e32 v33, 0x3f575c64, v8
	v_mul_f32_e32 v34, 0x3f575c64, v21
	v_fmac_f32_e32 v35, 0xbf27a4f4, v8
	v_mul_f32_e32 v21, 0xbf27a4f4, v21
	v_fma_f32 v8, v8, s5, -v10
	v_add_f32_e32 v32, v32, v36
	v_add_f32_e32 v33, v33, v37
	v_mov_b32_e32 v36, v34
	v_mov_b32_e32 v37, v21
	v_add_f32_e32 v4, v8, v4
	v_add_f32_e32 v8, v11, v17
	v_sub_f32_e32 v10, v11, v17
	v_sub_f32_e32 v11, v12, v18
	v_fmac_f32_e32 v36, 0x3f0a6770, v9
	v_fmac_f32_e32 v34, 0xbf0a6770, v9
	;; [unrolled: 1-line block ×4, first 2 shown]
	v_add_f32_e32 v9, v12, v18
	v_mul_f32_e32 v12, 0xbf4178ce, v11
	v_mov_b32_e32 v17, v12
	v_fmac_f32_e32 v17, 0xbf27a4f4, v8
	v_mul_f32_e32 v18, 0xbf27a4f4, v9
	v_fma_f32 v12, v8, s5, -v12
	v_add_f32_e32 v17, v17, v20
	v_mov_b32_e32 v20, v18
	v_add_f32_e32 v12, v12, v19
	v_fmac_f32_e32 v18, 0xbf4178ce, v10
	v_mul_f32_e32 v19, 0x3f7d64f0, v11
	v_add_f32_e32 v5, v21, v5
	v_fmac_f32_e32 v20, 0x3f4178ce, v10
	v_add_f32_e32 v18, v18, v22
	v_mov_b32_e32 v21, v19
	v_mul_f32_e32 v22, 0xbe11bafb, v9
	v_fma_f32 v19, v8, s3, -v19
	v_add_f32_e32 v20, v20, v24
	v_fmac_f32_e32 v21, 0xbe11bafb, v8
	v_mov_b32_e32 v24, v22
	v_add_f32_e32 v19, v19, v23
	v_fmac_f32_e32 v22, 0x3f7d64f0, v10
	v_mul_f32_e32 v23, 0xbf0a6770, v11
	v_add_f32_e32 v21, v21, v25
	v_fmac_f32_e32 v24, 0xbf7d64f0, v10
	v_add_f32_e32 v22, v22, v26
	v_mov_b32_e32 v25, v23
	v_mul_f32_e32 v26, 0x3f575c64, v9
	v_fma_f32 v23, v8, s4, -v23
	v_add_f32_e32 v24, v24, v28
	v_fmac_f32_e32 v25, 0x3f575c64, v8
	v_mov_b32_e32 v28, v26
	v_add_f32_e32 v23, v23, v27
	v_fmac_f32_e32 v26, 0xbf0a6770, v10
	v_mul_f32_e32 v27, 0xbe903f40, v11
	v_add_f32_e32 v25, v25, v29
	v_fmac_f32_e32 v28, 0x3f0a6770, v10
	v_add_f32_e32 v26, v26, v30
	v_mov_b32_e32 v29, v27
	v_mul_f32_e32 v30, 0xbf75a155, v9
	v_fma_f32 v27, v8, s6, -v27
	v_mul_f32_e32 v11, 0x3f68dda4, v11
	v_add_f32_e32 v39, v39, v43
	v_add_f32_e32 v38, v38, v42
	;; [unrolled: 1-line block ×3, first 2 shown]
	v_fmac_f32_e32 v29, 0xbf75a155, v8
	v_mov_b32_e32 v32, v30
	v_add_f32_e32 v27, v27, v31
	v_mov_b32_e32 v31, v11
	v_mul_f32_e32 v9, 0x3ed4b147, v9
	v_add_f32_e32 v41, v41, v45
	v_add_f32_e32 v36, v36, v39
	;; [unrolled: 1-line block ×4, first 2 shown]
	v_fmac_f32_e32 v32, 0x3e903f40, v10
	v_fmac_f32_e32 v30, 0xbe903f40, v10
	;; [unrolled: 1-line block ×3, first 2 shown]
	v_mov_b32_e32 v33, v9
	v_fma_f32 v8, v8, s2, -v11
	v_sub_f32_e32 v39, v14, v16
	v_add_f32_e32 v40, v40, v44
	v_add_f32_e32 v37, v37, v41
	;; [unrolled: 1-line block ×4, first 2 shown]
	v_fmac_f32_e32 v33, 0xbf68dda4, v10
	v_add_f32_e32 v34, v8, v4
	v_add_f32_e32 v36, v13, v15
	v_mul_f32_e32 v8, 0xbe903f40, v39
	v_add_f32_e32 v35, v35, v40
	v_add_f32_e32 v33, v33, v37
	v_fmac_f32_e32 v9, 0x3f68dda4, v10
	v_add_f32_e32 v37, v14, v16
	v_mov_b32_e32 v4, v8
	v_fma_f32 v8, v36, s6, -v8
	v_add_f32_e32 v31, v31, v35
	v_add_f32_e32 v35, v9, v5
	v_sub_f32_e32 v38, v13, v15
	v_mul_f32_e32 v9, 0xbf75a155, v37
	v_add_f32_e32 v8, v8, v12
	v_mul_f32_e32 v12, 0x3f0a6770, v39
	v_mul_f32_e32 v13, 0x3f575c64, v37
	;; [unrolled: 1-line block ×3, first 2 shown]
	v_mov_b32_e32 v5, v9
	v_mov_b32_e32 v10, v12
	;; [unrolled: 1-line block ×4, first 2 shown]
	v_fmac_f32_e32 v4, 0xbf75a155, v36
	v_fmac_f32_e32 v5, 0x3e903f40, v38
	;; [unrolled: 1-line block ×5, first 2 shown]
	v_add_f32_e32 v4, v4, v17
	v_add_f32_e32 v5, v5, v20
	v_fmac_f32_e32 v9, 0xbe903f40, v38
	v_add_f32_e32 v10, v10, v21
	v_add_f32_e32 v11, v11, v24
	v_fma_f32 v12, v36, s4, -v12
	v_fmac_f32_e32 v13, 0x3f0a6770, v38
	v_add_f32_e32 v14, v14, v25
	v_mul_f32_e32 v17, 0xbf27a4f4, v37
	v_fma_f32 v16, v36, s5, -v16
	v_mul_f32_e32 v20, 0x3f68dda4, v39
	v_mul_f32_e32 v21, 0x3ed4b147, v37
	;; [unrolled: 1-line block ×4, first 2 shown]
	v_add_f32_e32 v9, v9, v18
	v_add_f32_e32 v12, v12, v19
	;; [unrolled: 1-line block ×3, first 2 shown]
	v_mov_b32_e32 v15, v17
	v_add_f32_e32 v16, v16, v23
	v_mov_b32_e32 v18, v20
	v_mov_b32_e32 v19, v21
	;; [unrolled: 1-line block ×4, first 2 shown]
	v_fmac_f32_e32 v15, 0x3f4178ce, v38
	v_fmac_f32_e32 v17, 0xbf4178ce, v38
	;; [unrolled: 1-line block ×4, first 2 shown]
	v_fma_f32 v20, v36, s2, -v20
	v_fmac_f32_e32 v21, 0x3f68dda4, v38
	v_fmac_f32_e32 v22, 0xbe11bafb, v36
	;; [unrolled: 1-line block ×3, first 2 shown]
	v_fma_f32 v24, v36, s3, -v24
	v_fmac_f32_e32 v25, 0xbf7d64f0, v38
	v_add_f32_e32 v15, v15, v28
	v_add_f32_e32 v17, v17, v26
	;; [unrolled: 1-line block ×10, first 2 shown]
	ds_write2_b64 v93, v[6:7], v[4:5] offset1:176
	ds_write2_b64 v0, v[10:11], v[14:15] offset0:32 offset1:208
	ds_write2_b64 v3, v[18:19], v[22:23] offset0:64 offset1:240
	;; [unrolled: 1-line block ×3, first 2 shown]
	ds_write2_b64 v1, v[16:17], v[12:13] offset1:176
	ds_write_b64 v93, v[8:9] offset:14080
	s_waitcnt lgkmcnt(0)
	s_barrier
	ds_read2_b64 v[1:4], v93 offset1:176
	v_mad_u64_u32 v[9:10], s[2:3], s10, v74, 0
	s_mov_b32 s2, 0x6be69c90
	s_mov_b32 s3, 0x3f40ecf5
	s_waitcnt lgkmcnt(0)
	v_mul_f32_e32 v5, v82, v2
	v_fmac_f32_e32 v5, v81, v1
	v_cvt_f64_f32_e32 v[5:6], v5
	v_mul_f32_e32 v1, v82, v1
	v_fma_f32 v1, v81, v2, -v1
	v_cvt_f64_f32_e32 v[1:2], v1
	v_mul_f64 v[5:6], v[5:6], s[2:3]
	v_mad_u64_u32 v[11:12], s[4:5], s8, v96, 0
	v_mov_b32_e32 v7, v10
	v_mad_u64_u32 v[7:8], s[4:5], s11, v74, v[7:8]
	v_mul_f64 v[1:2], v[1:2], s[2:3]
	s_mul_hi_u32 s7, s8, 0xfffffce8
	v_cvt_f32_f64_e32 v13, v[5:6]
	v_mov_b32_e32 v5, v12
	v_mad_u64_u32 v[15:16], s[4:5], s9, v96, v[5:6]
	v_add_u32_e32 v5, 0x1c00, v93
	v_mov_b32_e32 v10, v7
	ds_read2_b64 v[5:8], v5 offset0:72 offset1:248
	v_cvt_f32_f64_e32 v14, v[1:2]
	v_lshlrev_b64 v[1:2], 3, v[9:10]
	v_mov_b32_e32 v12, v15
	v_mov_b32_e32 v15, s13
	s_waitcnt lgkmcnt(0)
	v_mul_f32_e32 v9, v78, v6
	v_fmac_f32_e32 v9, v77, v5
	v_mul_f32_e32 v5, v78, v5
	v_fma_f32 v5, v77, v6, -v5
	v_cvt_f64_f32_e32 v[9:10], v9
	v_cvt_f64_f32_e32 v[5:6], v5
	v_add_co_u32_e32 v16, vcc, s12, v1
	v_addc_co_u32_e32 v15, vcc, v15, v2, vcc
	v_mul_f64 v[1:2], v[9:10], s[2:3]
	v_mul_f64 v[5:6], v[5:6], s[2:3]
	v_lshlrev_b64 v[9:10], 3, v[11:12]
	s_mul_i32 s4, s9, 0x3c8
	s_mul_hi_u32 s5, s8, 0x3c8
	v_add_co_u32_e32 v9, vcc, v16, v9
	s_add_i32 s5, s5, s4
	v_cvt_f32_f64_e32 v1, v[1:2]
	v_cvt_f32_f64_e32 v2, v[5:6]
	v_mul_f32_e32 v5, v84, v4
	v_fmac_f32_e32 v5, v83, v3
	v_mul_f32_e32 v3, v84, v3
	v_fma_f32 v3, v83, v4, -v3
	v_cvt_f64_f32_e32 v[5:6], v5
	v_cvt_f64_f32_e32 v[3:4], v3
	s_mul_i32 s4, s8, 0x3c8
	v_addc_co_u32_e32 v10, vcc, v15, v10, vcc
	v_mul_f64 v[5:6], v[5:6], s[2:3]
	v_mul_f64 v[3:4], v[3:4], s[2:3]
	s_lshl_b64 s[4:5], s[4:5], 3
	global_store_dwordx2 v[9:10], v[13:14], off
	v_mov_b32_e32 v17, s5
	v_add_co_u32_e32 v9, vcc, s4, v9
	v_addc_co_u32_e32 v10, vcc, v10, v17, vcc
	v_cvt_f32_f64_e32 v5, v[5:6]
	v_cvt_f32_f64_e32 v6, v[3:4]
	v_mul_f32_e32 v3, v80, v7
	global_store_dwordx2 v[9:10], v[1:2], off
	v_mul_f32_e32 v1, v80, v8
	v_fma_f32 v3, v79, v8, -v3
	v_fmac_f32_e32 v1, v79, v7
	v_cvt_f64_f32_e32 v[3:4], v3
	v_cvt_f64_f32_e32 v[1:2], v1
	s_mul_i32 s6, s9, 0xfffffce8
	s_sub_i32 s7, s7, s8
	v_mul_f64 v[11:12], v[3:4], s[2:3]
	v_mul_f64 v[7:8], v[1:2], s[2:3]
	ds_read2_b64 v[0:3], v0 offset0:32 offset1:208
	s_add_i32 s7, s7, s6
	s_mul_i32 s6, s8, 0xfffffce8
	s_lshl_b64 s[6:7], s[6:7], 3
	v_mov_b32_e32 v18, s7
	s_waitcnt lgkmcnt(0)
	v_mul_f32_e32 v4, v76, v1
	v_add_co_u32_e32 v9, vcc, s6, v9
	v_fmac_f32_e32 v4, v75, v0
	v_addc_co_u32_e32 v10, vcc, v10, v18, vcc
	v_cvt_f32_f64_e32 v14, v[11:12]
	v_cvt_f64_f32_e32 v[11:12], v4
	v_add_u32_e32 v4, 0x2800, v93
	global_store_dwordx2 v[9:10], v[5:6], off
	v_cvt_f32_f64_e32 v13, v[7:8]
	ds_read2_b64 v[4:7], v4 offset0:40 offset1:216
	v_add_co_u32_e32 v8, vcc, s4, v9
	v_mul_f32_e32 v0, v76, v0
	v_addc_co_u32_e32 v9, vcc, v10, v17, vcc
	v_mul_f64 v[10:11], v[11:12], s[2:3]
	s_waitcnt lgkmcnt(0)
	v_mul_f32_e32 v12, v73, v5
	v_fma_f32 v0, v75, v1, -v0
	v_fmac_f32_e32 v12, v72, v4
	v_mul_f32_e32 v4, v73, v4
	v_cvt_f64_f32_e32 v[0:1], v0
	v_fma_f32 v4, v72, v5, -v4
	v_cvt_f64_f32_e32 v[4:5], v4
	v_cvt_f64_f32_e32 v[15:16], v12
	v_mul_f64 v[0:1], v[0:1], s[2:3]
	global_store_dwordx2 v[8:9], v[13:14], off
	v_mul_f64 v[4:5], v[4:5], s[2:3]
	v_mul_f64 v[12:13], v[15:16], s[2:3]
	v_cvt_f32_f64_e32 v10, v[10:11]
	v_cvt_f32_f64_e32 v11, v[0:1]
	v_add_co_u32_e32 v0, vcc, s6, v8
	v_addc_co_u32_e32 v1, vcc, v9, v18, vcc
	v_cvt_f32_f64_e32 v9, v[4:5]
	v_mul_f32_e32 v4, v71, v3
	v_fmac_f32_e32 v4, v70, v2
	v_mul_f32_e32 v2, v71, v2
	v_fma_f32 v2, v70, v3, -v2
	v_cvt_f64_f32_e32 v[4:5], v4
	v_cvt_f64_f32_e32 v[2:3], v2
	v_cvt_f32_f64_e32 v8, v[12:13]
	global_store_dwordx2 v[0:1], v[10:11], off
	v_add_co_u32_e32 v0, vcc, s4, v0
	v_addc_co_u32_e32 v1, vcc, v1, v17, vcc
	v_mul_f64 v[4:5], v[4:5], s[2:3]
	v_mul_f64 v[2:3], v[2:3], s[2:3]
	global_store_dwordx2 v[0:1], v[8:9], off
	v_mul_f32_e32 v8, v69, v7
	v_fmac_f32_e32 v8, v68, v6
	v_mul_f32_e32 v6, v69, v6
	v_fma_f32 v6, v68, v7, -v6
	v_cvt_f64_f32_e32 v[8:9], v8
	v_cvt_f64_f32_e32 v[6:7], v6
	v_cvt_f32_f64_e32 v4, v[4:5]
	v_cvt_f32_f64_e32 v5, v[2:3]
	v_mul_f64 v[2:3], v[8:9], s[2:3]
	v_mul_f64 v[6:7], v[6:7], s[2:3]
	ds_read_b64 v[8:9], v93 offset:5632
	v_add_co_u32_e32 v0, vcc, s6, v0
	v_addc_co_u32_e32 v1, vcc, v1, v18, vcc
	global_store_dwordx2 v[0:1], v[4:5], off
	ds_read_b64 v[4:5], v93 offset:13376
	v_cvt_f32_f64_e32 v2, v[2:3]
	v_cvt_f32_f64_e32 v3, v[6:7]
	s_waitcnt lgkmcnt(1)
	v_mul_f32_e32 v6, v65, v9
	v_fmac_f32_e32 v6, v64, v8
	v_cvt_f64_f32_e32 v[6:7], v6
	v_mul_f32_e32 v8, v65, v8
	v_fma_f32 v8, v64, v9, -v8
	v_cvt_f64_f32_e32 v[8:9], v8
	v_mul_f64 v[6:7], v[6:7], s[2:3]
	s_waitcnt lgkmcnt(0)
	v_mul_f32_e32 v10, v67, v5
	v_fmac_f32_e32 v10, v66, v4
	v_mul_f32_e32 v4, v67, v4
	v_fma_f32 v4, v66, v5, -v4
	v_mul_f64 v[8:9], v[8:9], s[2:3]
	v_cvt_f64_f32_e32 v[10:11], v10
	v_cvt_f64_f32_e32 v[4:5], v4
	v_add_co_u32_e32 v0, vcc, s4, v0
	v_addc_co_u32_e32 v1, vcc, v1, v17, vcc
	global_store_dwordx2 v[0:1], v[2:3], off
	v_cvt_f32_f64_e32 v2, v[6:7]
	v_mul_f64 v[6:7], v[10:11], s[2:3]
	v_mul_f64 v[4:5], v[4:5], s[2:3]
	v_cvt_f32_f64_e32 v3, v[8:9]
	v_add_co_u32_e32 v0, vcc, s6, v0
	v_addc_co_u32_e32 v1, vcc, v1, v18, vcc
	global_store_dwordx2 v[0:1], v[2:3], off
	v_cvt_f32_f64_e32 v2, v[6:7]
	v_cvt_f32_f64_e32 v3, v[4:5]
	v_add_co_u32_e32 v0, vcc, s4, v0
	v_addc_co_u32_e32 v1, vcc, v1, v17, vcc
	global_store_dwordx2 v[0:1], v[2:3], off
	s_and_b64 exec, exec, s[0:1]
	s_cbranch_execz .LBB0_31
; %bb.30:
	v_add_co_u32_e32 v2, vcc, 0x1000, v94
	v_addc_co_u32_e32 v3, vcc, 0, v95, vcc
	s_movk_i32 s0, 0x3000
	v_add_co_u32_e32 v4, vcc, s0, v94
	global_load_dwordx2 v[2:3], v[2:3], off offset:2944
	v_addc_co_u32_e32 v5, vcc, 0, v95, vcc
	global_load_dwordx2 v[4:5], v[4:5], off offset:2496
	ds_read_b64 v[6:7], v93 offset:7040
	ds_read_b64 v[8:9], v93 offset:14784
	v_mov_b32_e32 v10, s7
	v_add_co_u32_e32 v0, vcc, s6, v0
	v_addc_co_u32_e32 v1, vcc, v1, v10, vcc
	v_mov_b32_e32 v11, s5
	s_waitcnt vmcnt(1) lgkmcnt(1)
	v_mul_f32_e32 v12, v7, v3
	v_mul_f32_e32 v3, v6, v3
	v_fmac_f32_e32 v12, v6, v2
	s_waitcnt vmcnt(0) lgkmcnt(0)
	v_mul_f32_e32 v13, v9, v5
	v_mul_f32_e32 v5, v8, v5
	v_fma_f32 v6, v2, v7, -v3
	v_fmac_f32_e32 v13, v8, v4
	v_fma_f32 v8, v4, v9, -v5
	v_cvt_f64_f32_e32 v[2:3], v12
	v_cvt_f64_f32_e32 v[4:5], v6
	;; [unrolled: 1-line block ×4, first 2 shown]
	v_mul_f64 v[2:3], v[2:3], s[2:3]
	v_mul_f64 v[4:5], v[4:5], s[2:3]
	;; [unrolled: 1-line block ×4, first 2 shown]
	v_cvt_f32_f64_e32 v2, v[2:3]
	v_cvt_f32_f64_e32 v3, v[4:5]
	;; [unrolled: 1-line block ×4, first 2 shown]
	v_add_co_u32_e32 v6, vcc, s4, v0
	v_addc_co_u32_e32 v7, vcc, v1, v11, vcc
	global_store_dwordx2 v[0:1], v[2:3], off
	global_store_dwordx2 v[6:7], v[4:5], off
.LBB0_31:
	s_endpgm
	.section	.rodata,"a",@progbits
	.p2align	6, 0x0
	.amdhsa_kernel bluestein_single_back_len1936_dim1_sp_op_CI_CI
		.amdhsa_group_segment_fixed_size 15488
		.amdhsa_private_segment_fixed_size 0
		.amdhsa_kernarg_size 104
		.amdhsa_user_sgpr_count 6
		.amdhsa_user_sgpr_private_segment_buffer 1
		.amdhsa_user_sgpr_dispatch_ptr 0
		.amdhsa_user_sgpr_queue_ptr 0
		.amdhsa_user_sgpr_kernarg_segment_ptr 1
		.amdhsa_user_sgpr_dispatch_id 0
		.amdhsa_user_sgpr_flat_scratch_init 0
		.amdhsa_user_sgpr_private_segment_size 0
		.amdhsa_uses_dynamic_stack 0
		.amdhsa_system_sgpr_private_segment_wavefront_offset 0
		.amdhsa_system_sgpr_workgroup_id_x 1
		.amdhsa_system_sgpr_workgroup_id_y 0
		.amdhsa_system_sgpr_workgroup_id_z 0
		.amdhsa_system_sgpr_workgroup_info 0
		.amdhsa_system_vgpr_workitem_id 0
		.amdhsa_next_free_vgpr 140
		.amdhsa_next_free_sgpr 20
		.amdhsa_reserve_vcc 1
		.amdhsa_reserve_flat_scratch 0
		.amdhsa_float_round_mode_32 0
		.amdhsa_float_round_mode_16_64 0
		.amdhsa_float_denorm_mode_32 3
		.amdhsa_float_denorm_mode_16_64 3
		.amdhsa_dx10_clamp 1
		.amdhsa_ieee_mode 1
		.amdhsa_fp16_overflow 0
		.amdhsa_exception_fp_ieee_invalid_op 0
		.amdhsa_exception_fp_denorm_src 0
		.amdhsa_exception_fp_ieee_div_zero 0
		.amdhsa_exception_fp_ieee_overflow 0
		.amdhsa_exception_fp_ieee_underflow 0
		.amdhsa_exception_fp_ieee_inexact 0
		.amdhsa_exception_int_div_zero 0
	.end_amdhsa_kernel
	.text
.Lfunc_end0:
	.size	bluestein_single_back_len1936_dim1_sp_op_CI_CI, .Lfunc_end0-bluestein_single_back_len1936_dim1_sp_op_CI_CI
                                        ; -- End function
	.section	.AMDGPU.csdata,"",@progbits
; Kernel info:
; codeLenInByte = 15216
; NumSgprs: 24
; NumVgprs: 140
; ScratchSize: 0
; MemoryBound: 0
; FloatMode: 240
; IeeeMode: 1
; LDSByteSize: 15488 bytes/workgroup (compile time only)
; SGPRBlocks: 2
; VGPRBlocks: 34
; NumSGPRsForWavesPerEU: 24
; NumVGPRsForWavesPerEU: 140
; Occupancy: 1
; WaveLimiterHint : 1
; COMPUTE_PGM_RSRC2:SCRATCH_EN: 0
; COMPUTE_PGM_RSRC2:USER_SGPR: 6
; COMPUTE_PGM_RSRC2:TRAP_HANDLER: 0
; COMPUTE_PGM_RSRC2:TGID_X_EN: 1
; COMPUTE_PGM_RSRC2:TGID_Y_EN: 0
; COMPUTE_PGM_RSRC2:TGID_Z_EN: 0
; COMPUTE_PGM_RSRC2:TIDIG_COMP_CNT: 0
	.type	__hip_cuid_ab355f0a51de8238,@object ; @__hip_cuid_ab355f0a51de8238
	.section	.bss,"aw",@nobits
	.globl	__hip_cuid_ab355f0a51de8238
__hip_cuid_ab355f0a51de8238:
	.byte	0                               ; 0x0
	.size	__hip_cuid_ab355f0a51de8238, 1

	.ident	"AMD clang version 19.0.0git (https://github.com/RadeonOpenCompute/llvm-project roc-6.4.0 25133 c7fe45cf4b819c5991fe208aaa96edf142730f1d)"
	.section	".note.GNU-stack","",@progbits
	.addrsig
	.addrsig_sym __hip_cuid_ab355f0a51de8238
	.amdgpu_metadata
---
amdhsa.kernels:
  - .args:
      - .actual_access:  read_only
        .address_space:  global
        .offset:         0
        .size:           8
        .value_kind:     global_buffer
      - .actual_access:  read_only
        .address_space:  global
        .offset:         8
        .size:           8
        .value_kind:     global_buffer
      - .actual_access:  read_only
        .address_space:  global
        .offset:         16
        .size:           8
        .value_kind:     global_buffer
      - .actual_access:  read_only
        .address_space:  global
        .offset:         24
        .size:           8
        .value_kind:     global_buffer
      - .actual_access:  read_only
        .address_space:  global
        .offset:         32
        .size:           8
        .value_kind:     global_buffer
      - .offset:         40
        .size:           8
        .value_kind:     by_value
      - .address_space:  global
        .offset:         48
        .size:           8
        .value_kind:     global_buffer
      - .address_space:  global
        .offset:         56
        .size:           8
        .value_kind:     global_buffer
      - .address_space:  global
        .offset:         64
        .size:           8
        .value_kind:     global_buffer
      - .address_space:  global
        .offset:         72
        .size:           8
        .value_kind:     global_buffer
      - .offset:         80
        .size:           4
        .value_kind:     by_value
      - .address_space:  global
        .offset:         88
        .size:           8
        .value_kind:     global_buffer
      - .address_space:  global
        .offset:         96
        .size:           8
        .value_kind:     global_buffer
    .group_segment_fixed_size: 15488
    .kernarg_segment_align: 8
    .kernarg_segment_size: 104
    .language:       OpenCL C
    .language_version:
      - 2
      - 0
    .max_flat_workgroup_size: 176
    .name:           bluestein_single_back_len1936_dim1_sp_op_CI_CI
    .private_segment_fixed_size: 0
    .sgpr_count:     24
    .sgpr_spill_count: 0
    .symbol:         bluestein_single_back_len1936_dim1_sp_op_CI_CI.kd
    .uniform_work_group_size: 1
    .uses_dynamic_stack: false
    .vgpr_count:     140
    .vgpr_spill_count: 0
    .wavefront_size: 64
amdhsa.target:   amdgcn-amd-amdhsa--gfx906
amdhsa.version:
  - 1
  - 2
...

	.end_amdgpu_metadata
